;; amdgpu-corpus repo=LLNL/RAJAPerf kind=compiled arch=gfx1030 opt=O3
	.amdgcn_target "amdgcn-amd-amdhsa--gfx1030"
	.amdhsa_code_object_version 6
	.section	.text._ZN8rajaperf4apps6edge3dILm256EEEvPdS2_S2_S2_S2_S2_S2_S2_S2_S2_S2_S2_S2_S2_S2_S2_S2_S2_S2_S2_S2_S2_S2_S2_S2_ll,"axG",@progbits,_ZN8rajaperf4apps6edge3dILm256EEEvPdS2_S2_S2_S2_S2_S2_S2_S2_S2_S2_S2_S2_S2_S2_S2_S2_S2_S2_S2_S2_S2_S2_S2_S2_ll,comdat
	.protected	_ZN8rajaperf4apps6edge3dILm256EEEvPdS2_S2_S2_S2_S2_S2_S2_S2_S2_S2_S2_S2_S2_S2_S2_S2_S2_S2_S2_S2_S2_S2_S2_S2_ll ; -- Begin function _ZN8rajaperf4apps6edge3dILm256EEEvPdS2_S2_S2_S2_S2_S2_S2_S2_S2_S2_S2_S2_S2_S2_S2_S2_S2_S2_S2_S2_S2_S2_S2_S2_ll
	.globl	_ZN8rajaperf4apps6edge3dILm256EEEvPdS2_S2_S2_S2_S2_S2_S2_S2_S2_S2_S2_S2_S2_S2_S2_S2_S2_S2_S2_S2_S2_S2_S2_S2_ll
	.p2align	8
	.type	_ZN8rajaperf4apps6edge3dILm256EEEvPdS2_S2_S2_S2_S2_S2_S2_S2_S2_S2_S2_S2_S2_S2_S2_S2_S2_S2_S2_S2_S2_S2_S2_S2_ll,@function
_ZN8rajaperf4apps6edge3dILm256EEEvPdS2_S2_S2_S2_S2_S2_S2_S2_S2_S2_S2_S2_S2_S2_S2_S2_S2_S2_S2_S2_S2_S2_S2_S2_ll: ; @_ZN8rajaperf4apps6edge3dILm256EEEvPdS2_S2_S2_S2_S2_S2_S2_S2_S2_S2_S2_S2_S2_S2_S2_S2_S2_S2_S2_S2_S2_S2_S2_S2_ll
; %bb.0:
	s_clause 0x1
	s_load_dwordx4 s[24:27], s[4:5], 0xc0
	s_load_dwordx2 s[8:9], s[4:5], 0xd0
	s_add_u32 s0, s0, s7
	s_mov_b32 s7, 0
	s_addc_u32 s1, s1, 0
	s_lshl_b64 s[6:7], s[6:7], 8
	v_mov_b32_e32 v32, 0
	s_waitcnt lgkmcnt(0)
	s_add_u32 s6, s26, s6
	s_addc_u32 s7, s27, s7
	v_add_co_u32 v0, s6, s6, v0
	v_add_co_ci_u32_e64 v1, null, s7, 0, s6
	s_mov_b32 s6, exec_lo
	v_cmpx_gt_i64_e64 s[8:9], v[0:1]
	s_cbranch_execz .LBB0_11
; %bb.1:
	s_load_dwordx16 s[8:23], s[4:5], 0x0
	v_lshlrev_b64 v[48:49], 3, v[0:1]
	s_clause 0x1
	s_load_dwordx16 s[52:67], s[4:5], 0x40
	s_load_dwordx16 s[36:51], s[4:5], 0x80
	v_mov_b32_e32 v96, 0
	v_mov_b32_e32 v84, 0
	;; [unrolled: 1-line block ×17, first 2 shown]
	s_waitcnt lgkmcnt(0)
	v_add_co_u32 v0, vcc_lo, s10, v48
	v_add_co_ci_u32_e64 v1, null, s11, v49, vcc_lo
	v_add_co_u32 v2, vcc_lo, s12, v48
	v_add_co_ci_u32_e64 v3, null, s13, v49, vcc_lo
	;; [unrolled: 2-line block ×6, first 2 shown]
	global_load_dwordx2 v[0:1], v[0:1], off
	global_load_dwordx2 v[2:3], v[2:3], off
	;; [unrolled: 1-line block ×6, first 2 shown]
	v_add_co_u32 v12, vcc_lo, s22, v48
	v_add_co_ci_u32_e64 v13, null, s23, v49, vcc_lo
	v_add_co_u32 v16, vcc_lo, s52, v48
	v_add_co_ci_u32_e64 v17, null, s53, v49, vcc_lo
	;; [unrolled: 2-line block ×5, first 2 shown]
	global_load_dwordx2 v[14:15], v[12:13], off
	global_load_dwordx2 v[18:19], v[16:17], off
	;; [unrolled: 1-line block ×5, first 2 shown]
	v_add_co_u32 v22, vcc_lo, s60, v48
	v_add_co_ci_u32_e64 v23, null, s61, v49, vcc_lo
	v_add_co_u32 v24, vcc_lo, s62, v48
	v_add_co_ci_u32_e64 v25, null, s63, v49, vcc_lo
	;; [unrolled: 2-line block ×5, first 2 shown]
	global_load_dwordx2 v[28:29], v[22:23], off
	global_load_dwordx2 v[24:25], v[24:25], off
	;; [unrolled: 1-line block ×5, first 2 shown]
	v_add_co_u32 v33, vcc_lo, s24, v48
	v_add_co_ci_u32_e64 v34, null, s25, v49, vcc_lo
	v_add_co_u32 v35, vcc_lo, s38, v48
	v_add_co_ci_u32_e64 v36, null, s39, v49, vcc_lo
	;; [unrolled: 2-line block ×7, first 2 shown]
	v_add_co_u32 v47, vcc_lo, s50, v48
	buffer_store_dword v48, off, s[0:3], 0 offset:1824 ; 4-byte Folded Spill
	buffer_store_dword v49, off, s[0:3], 0 offset:1828 ; 4-byte Folded Spill
	v_mov_b32_e32 v126, 0
	v_mov_b32_e32 v128, 0
	;; [unrolled: 1-line block ×56, first 2 shown]
	s_mov_b32 s6, 0x74df99c7
	v_mov_b32_e32 v97, 0
	v_mov_b32_e32 v85, 0
	;; [unrolled: 1-line block ×73, first 2 shown]
	s_mov_b32 s7, 0x3fcb0cb1
	s_mov_b32 s10, 0x4ad4b81f
	;; [unrolled: 1-line block ×4, first 2 shown]
	s_mov_b32 s4, -1
	s_mov_b32 s11, 0x358dee7a
	s_mov_b32 s13, 0x3fe93cd3
	s_mov_b64 s[14:15], s[6:7]
	s_waitcnt vmcnt(13)
	v_add_f64 v[55:56], v[4:5], -v[2:3]
	s_waitcnt vmcnt(12)
	v_add_f64 v[53:54], v[4:5], -v[10:11]
	v_add_f64 v[51:52], v[10:11], -v[0:1]
	s_waitcnt vmcnt(10)
	v_add_f64 v[57:58], v[8:9], -v[6:7]
	s_waitcnt vmcnt(9)
	;; [unrolled: 2-line block ×3, first 2 shown]
	v_add_f64 v[59:60], v[18:19], -v[6:7]
	v_add_f64 v[61:62], v[14:15], -v[18:19]
	s_waitcnt vmcnt(6)
	v_add_f64 v[65:66], v[12:13], -v[16:17]
	s_waitcnt vmcnt(5)
	v_add_f64 v[69:70], v[20:21], -v[12:13]
	s_waitcnt vmcnt(4)
	v_add_f64 v[67:68], v[28:29], -v[16:17]
	s_waitcnt vmcnt(2)
	v_add_f64 v[71:72], v[22:23], -v[24:25]
	s_waitcnt vmcnt(1)
	v_add_f64 v[80:81], v[26:27], -v[22:23]
	s_waitcnt vmcnt(0)
	v_add_f64 v[78:79], v[30:31], -v[24:25]
	v_add_co_ci_u32_e64 v48, null, s51, v49, vcc_lo
	global_load_dwordx2 v[37:38], v[37:38], off
	global_load_dwordx2 v[45:46], v[45:46], off
	;; [unrolled: 1-line block ×8, first 2 shown]
	v_add_f64 v[49:50], v[6:7], -v[0:1]
	buffer_store_dword v32, off, s[0:3], 0
	buffer_store_dword v32, off, s[0:3], 0 offset:8
	buffer_store_dword v32, off, s[0:3], 0 offset:20
	;; [unrolled: 1-line block ×157, first 2 shown]
	v_mov_b32_e32 v32, 0x3fe00000
	buffer_store_dword v32, off, s[0:3], 0 offset:4
	buffer_store_dword v49, off, s[0:3], 0 offset:1728 ; 4-byte Folded Spill
	buffer_store_dword v50, off, s[0:3], 0 offset:1732 ; 4-byte Folded Spill
	v_add_f64 v[49:50], v[8:9], -v[2:3]
	buffer_store_dword v49, off, s[0:3], 0 offset:1736 ; 4-byte Folded Spill
	buffer_store_dword v50, off, s[0:3], 0 offset:1740 ; 4-byte Folded Spill
	v_add_f64 v[49:50], v[14:15], -v[4:5]
	;; [unrolled: 3-line block ×8, first 2 shown]
	v_add_f64 v[30:31], v[26:27], -v[30:31]
	v_mov_b32_e32 v26, 0
	v_mov_b32_e32 v2, 0
	;; [unrolled: 1-line block ×6, first 2 shown]
	v_add_f64 v[28:29], v[20:21], -v[28:29]
	s_waitcnt vmcnt(6)
	v_add_f64 v[0:1], v[45:46], -v[37:38]
	buffer_store_dword v0, off, s[0:3], 0 offset:1792 ; 4-byte Folded Spill
	buffer_store_dword v1, off, s[0:3], 0 offset:1796 ; 4-byte Folded Spill
	s_waitcnt vmcnt(3)
	v_add_f64 v[0:1], v[47:48], -v[39:40]
	buffer_store_dword v0, off, s[0:3], 0 offset:1800 ; 4-byte Folded Spill
	buffer_store_dword v1, off, s[0:3], 0 offset:1804 ; 4-byte Folded Spill
	;; [unrolled: 4-line block ×4, first 2 shown]
	v_add_f64 v[82:83], v[37:38], -v[35:36]
	v_add_f64 v[37:38], v[39:40], -v[37:38]
	;; [unrolled: 1-line block ×8, first 2 shown]
	v_mov_b32_e32 v47, 0
	v_mov_b32_e32 v0, 0
	;; [unrolled: 1-line block ×4, first 2 shown]
	buffer_store_dword v32, off, s[0:3], 0 offset:12
	buffer_store_dword v49, off, s[0:3], 0 offset:1536 ; 4-byte Folded Spill
	buffer_store_dword v50, off, s[0:3], 0 offset:1540 ; 4-byte Folded Spill
	;; [unrolled: 1-line block ×48, first 2 shown]
	s_branch .LBB0_3
.LBB0_2:                                ;   in Loop: Header=BB0_3 Depth=1
	s_mov_b32 s5, 8
	s_and_b32 vcc_lo, exec_lo, s20
	s_mov_b64 s[14:15], s[12:13]
	s_cbranch_vccnz .LBB0_8
.LBB0_3:                                ; =>This Loop Header: Depth=1
                                        ;     Child Loop BB0_4 Depth 2
                                        ;       Child Loop BB0_5 Depth 3
	v_add_f64 v[74:75], -s[14:15], 1.0
	s_xor_b32 s20, s4, -1
	s_mov_b32 s4, -1
	s_mov_b32 s18, 0
	s_mov_b64 s[16:17], s[6:7]
.LBB0_4:                                ;   Parent Loop BB0_3 Depth=1
                                        ; =>  This Loop Header: Depth=2
                                        ;       Child Loop BB0_5 Depth 3
	s_waitcnt vmcnt(5)
	buffer_store_dword v4, off, s[0:3], 0 offset:1184 ; 4-byte Folded Spill
	s_waitcnt vmcnt(4)
	buffer_store_dword v5, off, s[0:3], 0 offset:1188 ; 4-byte Folded Spill
	;; [unrolled: 2-line block ×6, first 2 shown]
	v_mov_b32_e32 v1, s5
	v_mov_b32_e32 v3, s18
	v_add_f64 v[76:77], -s[16:17], 1.0
	v_mul_f64 v[14:15], s[14:15], s[16:17]
	s_mov_b32 s23, -1
	s_clause 0x9
	buffer_load_dword v0, v1, s[0:3], 0 offen
	buffer_load_dword v1, v1, s[0:3], 0 offen offset:4
	buffer_load_dword v2, v3, s[0:3], 0 offen
	buffer_load_dword v3, v3, s[0:3], 0 offen offset:4
	buffer_load_dword v4, off, s[0:3], 0 offset:1736
	buffer_load_dword v5, off, s[0:3], 0 offset:1740
	;; [unrolled: 1-line block ×6, first 2 shown]
	s_xor_b32 s21, s4, -1
	s_mov_b32 s22, 0
	s_mov_b64 s[18:19], s[6:7]
	v_mul_f64 v[10:11], s[14:15], v[76:77]
	v_mul_f64 v[12:13], v[74:75], v[76:77]
	s_waitcnt vmcnt(6)
	v_mul_f64 v[0:1], v[0:1], v[2:3]
	s_waitcnt vmcnt(4)
	;; [unrolled: 2-line block ×3, first 2 shown]
	v_mul_f64 v[6:7], v[6:7], v[10:11]
	buffer_store_dword v10, off, s[0:3], 0 offset:1480 ; 4-byte Folded Spill
	buffer_store_dword v11, off, s[0:3], 0 offset:1484 ; 4-byte Folded Spill
	s_waitcnt vmcnt(0)
	v_mul_f64 v[8:9], v[8:9], v[10:11]
	s_clause 0x1
	buffer_load_dword v10, off, s[0:3], 0 offset:1728
	buffer_load_dword v11, off, s[0:3], 0 offset:1732
	s_waitcnt vmcnt(0)
	v_fma_f64 v[4:5], v[10:11], v[12:13], v[4:5]
	s_clause 0x1
	buffer_load_dword v10, off, s[0:3], 0 offset:1760
	buffer_load_dword v11, off, s[0:3], 0 offset:1764
	s_waitcnt vmcnt(0)
	v_fma_f64 v[6:7], v[10:11], v[12:13], v[6:7]
	;; [unrolled: 5-line block ×3, first 2 shown]
	s_clause 0x1
	buffer_load_dword v10, off, s[0:3], 0 offset:1744
	buffer_load_dword v11, off, s[0:3], 0 offset:1748
	v_mul_f64 v[12:13], v[74:75], s[16:17]
	s_waitcnt vmcnt(0)
	v_fma_f64 v[4:5], v[10:11], v[14:15], v[4:5]
	s_clause 0x1
	buffer_load_dword v10, off, s[0:3], 0 offset:1776
	buffer_load_dword v11, off, s[0:3], 0 offset:1780
	s_waitcnt vmcnt(0)
	v_fma_f64 v[6:7], v[10:11], v[14:15], v[6:7]
	s_clause 0x1
	buffer_load_dword v10, off, s[0:3], 0 offset:1800
	buffer_load_dword v11, off, s[0:3], 0 offset:1804
	buffer_store_dword v14, off, s[0:3], 0 offset:1488 ; 4-byte Folded Spill
	buffer_store_dword v15, off, s[0:3], 0 offset:1492 ; 4-byte Folded Spill
	s_waitcnt vmcnt(0)
	v_fma_f64 v[8:9], v[10:11], v[14:15], v[8:9]
	s_clause 0x1
	buffer_load_dword v10, off, s[0:3], 0 offset:1752
	buffer_load_dword v11, off, s[0:3], 0 offset:1756
	s_waitcnt vmcnt(0)
	v_fma_f64 v[4:5], v[10:11], v[12:13], v[4:5]
	buffer_store_dword v4, off, s[0:3], 0 offset:1504 ; 4-byte Folded Spill
	buffer_store_dword v5, off, s[0:3], 0 offset:1508 ; 4-byte Folded Spill
	s_clause 0x1
	buffer_load_dword v4, off, s[0:3], 0 offset:1784
	buffer_load_dword v5, off, s[0:3], 0 offset:1788
	s_waitcnt vmcnt(0)
	v_fma_f64 v[4:5], v[4:5], v[12:13], v[6:7]
	buffer_store_dword v4, off, s[0:3], 0 offset:1512 ; 4-byte Folded Spill
	buffer_store_dword v5, off, s[0:3], 0 offset:1516 ; 4-byte Folded Spill
	;; [unrolled: 1-line block ×4, first 2 shown]
	s_clause 0x1
	buffer_load_dword v0, off, s[0:3], 0 offset:1816
	buffer_load_dword v1, off, s[0:3], 0 offset:1820
	buffer_store_dword v12, off, s[0:3], 0 offset:1496 ; 4-byte Folded Spill
	buffer_store_dword v13, off, s[0:3], 0 offset:1500 ; 4-byte Folded Spill
	s_waitcnt vmcnt(0)
	v_fma_f64 v[0:1], v[0:1], v[12:13], v[8:9]
	buffer_store_dword v0, off, s[0:3], 0 offset:1528 ; 4-byte Folded Spill
	buffer_store_dword v1, off, s[0:3], 0 offset:1532 ; 4-byte Folded Spill
.LBB0_5:                                ;   Parent Loop BB0_3 Depth=1
                                        ;     Parent Loop BB0_4 Depth=2
                                        ; =>    This Inner Loop Header: Depth=3
	v_cndmask_b32_e64 v0, 0, 1, s23
	buffer_store_dword v248, off, s[0:3], 0 offset:1472 ; 4-byte Folded Spill
	buffer_store_dword v249, off, s[0:3], 0 offset:1476 ; 4-byte Folded Spill
	;; [unrolled: 1-line block ×72, first 2 shown]
	v_mul_f64 v[20:21], v[76:77], s[18:19]
	v_mul_f64 v[22:23], v[74:75], s[18:19]
	;; [unrolled: 1-line block ×3, first 2 shown]
	v_cmp_ne_u32_e64 s4, 1, v0
	v_mov_b32_e32 v0, s22
	v_mul_f64 v[16:17], s[14:15], s[18:19]
	s_mov_b32 s22, 8
	s_mov_b32 s23, 0
	s_clause 0x1
	buffer_load_dword v10, v0, s[0:3], 0 offen
	buffer_load_dword v11, v0, s[0:3], 0 offen offset:4
	v_add_f64 v[0:1], -s[18:19], 1.0
	v_mul_f64 v[12:13], v[74:75], v[0:1]
	v_mul_f64 v[24:25], s[16:17], v[0:1]
	;; [unrolled: 1-line block ×4, first 2 shown]
	s_waitcnt vmcnt(12)
	v_mul_f64 v[8:9], v[51:52], v[12:13]
	v_mul_f64 v[2:3], v[53:54], v[24:25]
	;; [unrolled: 1-line block ×4, first 2 shown]
	s_waitcnt vmcnt(2)
	v_mul_f64 v[28:29], v[67:68], v[12:13]
	v_fma_f64 v[8:9], v[55:56], v[26:27], v[8:9]
	v_fma_f64 v[2:3], v[49:50], v[14:15], v[2:3]
	;; [unrolled: 1-line block ×7, first 2 shown]
	s_clause 0x1
	buffer_load_dword v58, off, s[0:3], 0 offset:1504
	buffer_load_dword v59, off, s[0:3], 0 offset:1508
	v_fma_f64 v[4:5], v[71:72], v[20:21], v[4:5]
	v_fma_f64 v[6:7], v[41:42], v[20:21], v[6:7]
	;; [unrolled: 1-line block ×5, first 2 shown]
	s_clause 0x3
	buffer_load_dword v60, off, s[0:3], 0 offset:1512
	buffer_load_dword v61, off, s[0:3], 0 offset:1516
	;; [unrolled: 1-line block ×4, first 2 shown]
	v_fma_f64 v[4:5], v[30:31], v[18:19], v[4:5]
	v_mul_f64 v[30:31], v[35:36], v[12:13]
	v_fma_f64 v[6:7], v[33:34], v[18:19], v[6:7]
	v_fma_f64 v[28:29], v[80:81], v[16:17], v[28:29]
	v_fma_f64 v[30:31], v[37:38], v[26:27], v[30:31]
	v_mul_f64 v[38:39], v[8:9], v[4:5]
	v_mul_f64 v[34:35], v[28:29], v[6:7]
	;; [unrolled: 1-line block ×3, first 2 shown]
	v_fma_f64 v[30:31], v[43:44], v[22:23], v[30:31]
	v_fma_f64 v[30:31], v[45:46], v[16:17], v[30:31]
	v_mul_f64 v[32:33], v[4:5], v[30:31]
	s_waitcnt vmcnt(4)
	v_mul_f64 v[36:37], v[58:59], v[34:35]
	v_fma_f64 v[34:35], v[4:5], v[30:31], -v[34:35]
	v_mul_f64 v[48:49], v[58:59], v[28:29]
	v_fma_f64 v[32:33], v[58:59], v[32:33], -v[36:37]
	v_mul_f64 v[36:37], v[8:9], v[6:7]
	s_waitcnt vmcnt(2)
	v_mul_f64 v[50:51], v[60:61], v[2:3]
	v_fma_f64 v[48:49], v[60:61], v[8:9], -v[48:49]
	v_fma_f64 v[32:33], v[60:61], v[36:37], v[32:33]
	v_mul_f64 v[36:37], v[2:3], v[30:31]
	v_fma_f64 v[50:51], v[58:59], v[4:5], -v[50:51]
	v_fma_f64 v[32:33], -v[60:61], v[36:37], v[32:33]
	v_fma_f64 v[36:37], v[8:9], v[6:7], -v[36:37]
	s_waitcnt vmcnt(0)
	v_fma_f64 v[32:33], -v[62:63], v[38:39], v[32:33]
	v_fma_f64 v[38:39], v[2:3], v[28:29], -v[38:39]
	v_fma_f64 v[106:107], v[62:63], v[40:41], v[32:33]
	v_add_f64 v[32:33], v[106:107], s[10:11]
	v_div_scale_f64 v[40:41], null, v[32:33], v[32:33], 1.0
	v_rcp_f64_e32 v[42:43], v[40:41]
	v_fma_f64 v[44:45], -v[40:41], v[42:43], 1.0
	v_fma_f64 v[42:43], v[42:43], v[44:45], v[42:43]
	v_fma_f64 v[44:45], -v[40:41], v[42:43], 1.0
	v_fma_f64 v[42:43], v[42:43], v[44:45], v[42:43]
	v_div_scale_f64 v[44:45], vcc_lo, 1.0, v[32:33], 1.0
	v_mul_f64 v[46:47], v[44:45], v[42:43]
	v_fma_f64 v[40:41], -v[40:41], v[46:47], v[44:45]
	v_mul_f64 v[44:45], v[62:63], v[8:9]
	v_div_fmas_f64 v[40:41], v[40:41], v[42:43], v[46:47]
	v_mul_f64 v[42:43], v[62:63], v[4:5]
	v_mul_f64 v[46:47], v[58:59], v[6:7]
	v_fma_f64 v[44:45], v[58:59], v[30:31], -v[44:45]
	v_div_fixup_f64 v[32:33], v[40:41], v[32:33], 1.0
	v_mul_f64 v[40:41], v[60:61], v[30:31]
	v_fma_f64 v[42:43], v[60:61], v[6:7], -v[42:43]
	v_fma_f64 v[46:47], v[62:63], v[2:3], -v[46:47]
	v_mul_f64 v[34:35], v[34:35], v[32:33]
	v_fma_f64 v[40:41], v[62:63], v[28:29], -v[40:41]
	v_mul_f64 v[42:43], v[42:43], v[32:33]
	v_mul_f64 v[46:47], v[46:47], v[32:33]
	v_mul_f64 v[44:45], v[44:45], v[32:33]
	v_mul_f64 v[36:37], v[36:37], v[32:33]
	v_mul_f64 v[50:51], v[50:51], v[32:33]
	v_mul_f64 v[48:49], v[48:49], v[32:33]
	v_mul_f64 v[40:41], v[40:41], v[32:33]
	v_mul_f64 v[52:53], v[42:43], 0
	v_mul_f64 v[32:33], v[38:39], v[32:33]
	v_add_f64 v[38:39], |v[106:107]|, s[10:11]
	v_fma_f64 v[54:55], v[14:15], v[40:41], v[52:53]
	v_fma_f64 v[108:109], v[34:35], 0, v[54:55]
	v_mul_f64 v[54:55], v[46:47], 0
	v_fma_f64 v[56:57], v[14:15], v[44:45], v[54:55]
	v_fma_f64 v[128:129], v[36:37], 0, v[56:57]
	v_mul_f64 v[56:57], v[50:51], 0
	v_fma_f64 v[14:15], v[14:15], v[48:49], v[56:57]
	v_fma_f64 v[126:127], v[32:33], 0, v[14:15]
	;; [unrolled: 1-line block ×20, first 2 shown]
	v_mul_f64 v[14:15], v[40:41], 0
	v_fma_f64 v[18:19], v[12:13], v[42:43], v[14:15]
	v_fma_f64 v[246:247], v[34:35], 0, v[18:19]
	v_mul_f64 v[18:19], v[44:45], 0
	v_fma_f64 v[20:21], v[12:13], v[46:47], v[18:19]
	v_fma_f64 v[94:95], v[36:37], 0, v[20:21]
	;; [unrolled: 3-line block ×3, first 2 shown]
	v_fma_f64 v[12:13], v[26:27], v[42:43], v[14:15]
	v_fma_f64 v[180:181], v[34:35], 0, v[12:13]
	;; [unrolled: 1-line block ×11, first 2 shown]
	v_mul_f64 v[22:23], v[74:75], v[76:77]
	v_fma_f64 v[146:147], v[32:33], 0, v[12:13]
	v_fma_f64 v[12:13], v[16:17], v[42:43], v[14:15]
	;; [unrolled: 1-line block ×10, first 2 shown]
	s_clause 0x1
	buffer_load_dword v18, off, s[0:3], 0 offset:1480
	buffer_load_dword v19, off, s[0:3], 0 offset:1484
	v_fma_f64 v[92:93], v[22:23], v[32:33], v[16:17]
	v_fma_f64 v[88:89], v[22:23], v[34:35], v[12:13]
	;; [unrolled: 1-line block ×3, first 2 shown]
	s_waitcnt vmcnt(0)
	v_fma_f64 v[82:83], v[18:19], v[34:35], v[12:13]
	v_fma_f64 v[86:87], v[18:19], v[36:37], v[14:15]
	;; [unrolled: 1-line block ×3, first 2 shown]
	s_clause 0x1
	buffer_load_dword v18, off, s[0:3], 0 offset:1496
	buffer_load_dword v19, off, s[0:3], 0 offset:1500
	s_waitcnt vmcnt(0)
	v_fma_f64 v[90:91], v[18:19], v[34:35], v[12:13]
	v_fma_f64 v[78:79], v[18:19], v[36:37], v[14:15]
	;; [unrolled: 1-line block ×3, first 2 shown]
	s_clause 0x1
	buffer_load_dword v18, off, s[0:3], 0 offset:1488
	buffer_load_dword v19, off, s[0:3], 0 offset:1492
	s_waitcnt vmcnt(0)
	v_fma_f64 v[68:69], v[18:19], v[34:35], v[12:13]
	s_clause 0x1
	buffer_load_dword v12, off, s[0:3], 0 offset:1520
	buffer_load_dword v13, off, s[0:3], 0 offset:1524
	v_fma_f64 v[72:73], v[18:19], v[36:37], v[14:15]
	v_fma_f64 v[70:71], v[18:19], v[32:33], v[16:17]
	s_waitcnt vmcnt(0)
	v_mul_f64 v[252:253], v[12:13], v[10:11]
	v_div_scale_f64 v[10:11], null, v[38:39], v[38:39], 1.0
	v_mul_f64 v[252:253], v[252:253], |v[106:107]|
	v_rcp_f64_e32 v[12:13], v[10:11]
	v_mul_f64 v[106:107], v[128:129], v[128:129]
	v_fma_f64 v[106:107], v[108:109], v[108:109], v[106:107]
	v_fma_f64 v[14:15], -v[10:11], v[12:13], 1.0
	v_fma_f64 v[106:107], v[126:127], v[126:127], v[106:107]
	v_fma_f64 v[12:13], v[12:13], v[14:15], v[12:13]
	v_fma_f64 v[14:15], -v[10:11], v[12:13], 1.0
	v_fma_f64 v[12:13], v[12:13], v[14:15], v[12:13]
	v_div_scale_f64 v[14:15], vcc_lo, 1.0, v[38:39], 1.0
	v_mul_f64 v[16:17], v[14:15], v[12:13]
	v_fma_f64 v[10:11], -v[10:11], v[16:17], v[14:15]
	v_div_fmas_f64 v[10:11], v[10:11], v[12:13], v[16:17]
	s_and_b32 vcc_lo, exec_lo, s4
	v_div_fixup_f64 v[10:11], v[10:11], v[38:39], 1.0
	v_mul_f64 v[250:251], v[2:3], v[10:11]
	v_mul_f64 v[2:3], v[8:9], v[10:11]
	;; [unrolled: 1-line block ×10, first 2 shown]
	v_mul_f64 v[10:11], v[2:3], -v[76:77]
	v_mul_f64 v[144:145], v[2:3], -s[16:17]
	v_mul_f64 v[154:155], s[16:17], v[2:3]
	v_mul_f64 v[140:141], v[4:5], -v[76:77]
	v_mul_f64 v[148:149], v[4:5], -s[16:17]
	v_mul_f64 v[50:51], v[76:77], v[4:5]
	v_mul_f64 v[156:157], s[16:17], v[4:5]
	v_mul_f64 v[142:143], v[6:7], -v[76:77]
	v_mul_f64 v[150:151], v[6:7], -s[16:17]
	v_mul_f64 v[152:153], v[76:77], v[6:7]
	v_mul_f64 v[158:159], s[16:17], v[6:7]
	v_fma_f64 v[12:13], v[2:3], -v[76:77], v[8:9]
	v_fma_f64 v[18:19], v[76:77], v[2:3], v[8:9]
	v_fma_f64 v[58:59], v[0:1], v[254:255], v[12:13]
	v_mul_f64 v[12:13], v[130:131], 0
	v_fma_f64 v[42:43], s[18:19], v[254:255], v[18:19]
	v_fma_f64 v[14:15], v[4:5], -v[76:77], v[12:13]
	v_fma_f64 v[18:19], v[76:77], v[4:5], v[12:13]
	v_fma_f64 v[66:67], v[0:1], v[134:135], v[14:15]
	v_mul_f64 v[14:15], v[136:137], 0
	v_fma_f64 v[46:47], s[18:19], v[134:135], v[18:19]
	v_fma_f64 v[16:17], v[6:7], -v[76:77], v[14:15]
	v_fma_f64 v[18:19], v[76:77], v[6:7], v[14:15]
	v_fma_f64 v[62:63], v[0:1], v[138:139], v[16:17]
	v_fma_f64 v[16:17], v[2:3], -s[16:17], v[8:9]
	v_fma_f64 v[8:9], s[16:17], v[2:3], v[8:9]
	v_fma_f64 v[44:45], s[18:19], v[138:139], v[18:19]
	v_fma_f64 v[48:49], -v[254:255], v[0:1], v[16:17]
	v_fma_f64 v[16:17], v[4:5], -s[16:17], v[12:13]
	v_fma_f64 v[36:37], -v[254:255], s[18:19], v[8:9]
	v_fma_f64 v[8:9], s[16:17], v[4:5], v[12:13]
	v_mul_f64 v[4:5], v[4:5], 0
	v_fma_f64 v[54:55], -v[134:135], v[0:1], v[16:17]
	v_fma_f64 v[16:17], v[6:7], -s[16:17], v[14:15]
	v_fma_f64 v[40:41], -v[134:135], s[18:19], v[8:9]
	v_fma_f64 v[8:9], s[16:17], v[6:7], v[14:15]
	v_mul_f64 v[6:7], v[6:7], 0
	v_fma_f64 v[52:53], -v[138:139], v[0:1], v[16:17]
	v_mul_f64 v[16:17], v[76:77], v[2:3]
	v_mul_f64 v[2:3], v[2:3], 0
	v_fma_f64 v[38:39], -v[138:139], s[18:19], v[8:9]
	v_fma_f64 v[8:9], v[74:75], v[250:251], v[2:3]
	v_fma_f64 v[30:31], v[254:255], -v[0:1], v[8:9]
	v_fma_f64 v[8:9], v[74:75], v[130:131], v[4:5]
	v_fma_f64 v[34:35], v[134:135], -v[0:1], v[8:9]
	;; [unrolled: 2-line block ×3, first 2 shown]
	v_fma_f64 v[8:9], s[14:15], v[250:251], v[2:3]
	v_fma_f64 v[24:25], v[0:1], v[254:255], v[8:9]
	;; [unrolled: 1-line block ×6, first 2 shown]
	v_fma_f64 v[0:1], -v[250:251], v[74:75], v[2:3]
	v_fma_f64 v[18:19], v[254:255], -s[18:19], v[0:1]
	v_fma_f64 v[0:1], -v[130:131], v[74:75], v[4:5]
	v_fma_f64 v[22:23], v[134:135], -s[18:19], v[0:1]
	;; [unrolled: 2-line block ×3, first 2 shown]
	v_fma_f64 v[0:1], -v[250:251], s[14:15], v[2:3]
	v_fma_f64 v[56:57], s[18:19], v[254:255], v[0:1]
	v_fma_f64 v[0:1], -v[130:131], s[14:15], v[4:5]
	v_fma_f64 v[64:65], s[18:19], v[134:135], v[0:1]
	;; [unrolled: 2-line block ×3, first 2 shown]
	v_fma_f64 v[0:1], v[250:251], -v[74:75], v[16:17]
	s_mov_b64 s[18:19], s[12:13]
	v_fma_f64 v[14:15], v[254:255], 0, v[0:1]
	v_fma_f64 v[0:1], v[130:131], -v[74:75], v[50:51]
	v_fma_f64 v[50:51], v[134:135], 0, v[0:1]
	v_fma_f64 v[0:1], v[136:137], -v[74:75], v[152:153]
	;; [unrolled: 2-line block ×5, first 2 shown]
	v_fma_f64 v[10:11], v[138:139], 0, v[0:1]
	v_fma_f64 v[0:1], v[74:75], v[250:251], v[154:155]
	;; [unrolled: 1-line block ×13, first 2 shown]
	s_clause 0x1
	buffer_load_dword v130, off, s[0:3], 0 offset:1184
	buffer_load_dword v131, off, s[0:3], 0 offset:1188
	s_waitcnt vmcnt(0)
	v_fma_f64 v[106:107], v[252:253], v[106:107], v[130:131]
	v_mul_f64 v[130:131], v[128:129], v[124:125]
	buffer_store_dword v107, off, s[0:3], 0 offset:20
	buffer_store_dword v106, off, s[0:3], 0 offset:16
	v_fma_f64 v[130:131], v[108:109], v[112:113], v[130:131]
	v_fma_f64 v[130:131], v[126:127], v[122:123], v[130:131]
	v_fma_f64 v[244:245], v[252:253], v[130:131], v[244:245]
	v_mul_f64 v[130:131], v[128:129], v[118:119]
	buffer_store_dword v245, off, s[0:3], 0 offset:28
	buffer_store_dword v244, off, s[0:3], 0 offset:24
	buffer_store_dword v245, off, s[0:3], 0 offset:116
	buffer_store_dword v244, off, s[0:3], 0 offset:112
	v_fma_f64 v[130:131], v[108:109], v[114:115], v[130:131]
	v_fma_f64 v[130:131], v[126:127], v[116:117], v[130:131]
	v_fma_f64 v[242:243], v[252:253], v[130:131], v[242:243]
	v_mul_f64 v[130:131], v[128:129], v[104:105]
	buffer_store_dword v243, off, s[0:3], 0 offset:36
	buffer_store_dword v242, off, s[0:3], 0 offset:32
	;; [unrolled: 8-line block ×8, first 2 shown]
	buffer_store_dword v231, off, s[0:3], 0 offset:788
	buffer_store_dword v230, off, s[0:3], 0 offset:784
	v_fma_f64 v[130:131], v[108:109], v[82:83], v[130:131]
	v_fma_f64 v[130:131], v[126:127], v[84:85], v[130:131]
	v_fma_f64 v[228:229], v[252:253], v[130:131], v[228:229]
	v_mul_f64 v[130:131], v[128:129], v[78:79]
	v_mul_f64 v[128:129], v[128:129], v[72:73]
	buffer_store_dword v229, off, s[0:3], 0 offset:92
	buffer_store_dword v228, off, s[0:3], 0 offset:88
	buffer_store_dword v229, off, s[0:3], 0 offset:884
	buffer_store_dword v228, off, s[0:3], 0 offset:880
	v_fma_f64 v[130:131], v[108:109], v[90:91], v[130:131]
	v_fma_f64 v[108:109], v[108:109], v[68:69], v[128:129]
	;; [unrolled: 1-line block ×6, first 2 shown]
	buffer_store_dword v226, off, s[0:3], 0 offset:96
	buffer_store_dword v227, off, s[0:3], 0 offset:100
	;; [unrolled: 1-line block ×8, first 2 shown]
	s_clause 0x1
	buffer_load_dword v126, off, s[0:3], 0 offset:1176
	buffer_load_dword v127, off, s[0:3], 0 offset:1180
	v_mul_f64 v[108:109], v[124:125], v[124:125]
	v_fma_f64 v[108:109], v[112:113], v[112:113], v[108:109]
	v_fma_f64 v[108:109], v[122:123], v[122:123], v[108:109]
	s_waitcnt vmcnt(0)
	v_fma_f64 v[108:109], v[252:253], v[108:109], v[126:127]
	v_mul_f64 v[126:127], v[124:125], v[118:119]
	buffer_store_dword v108, off, s[0:3], 0 offset:120
	buffer_store_dword v109, off, s[0:3], 0 offset:124
	v_fma_f64 v[126:127], v[112:113], v[114:115], v[126:127]
	v_fma_f64 v[126:127], v[122:123], v[116:117], v[126:127]
	v_fma_f64 v[220:221], v[252:253], v[126:127], v[220:221]
	v_mul_f64 v[126:127], v[124:125], v[104:105]
	buffer_store_dword v220, off, s[0:3], 0 offset:128
	buffer_store_dword v221, off, s[0:3], 0 offset:132
	buffer_store_dword v220, off, s[0:3], 0 offset:216
	buffer_store_dword v221, off, s[0:3], 0 offset:220
	v_fma_f64 v[126:127], v[112:113], v[98:99], v[126:127]
	v_fma_f64 v[126:127], v[122:123], v[100:101], v[126:127]
	v_fma_f64 v[218:219], v[252:253], v[126:127], v[218:219]
	v_mul_f64 v[126:127], v[124:125], v[94:95]
	buffer_store_dword v219, off, s[0:3], 0 offset:140
	buffer_store_dword v218, off, s[0:3], 0 offset:136
	;; [unrolled: 8-line block ×7, first 2 shown]
	buffer_store_dword v209, off, s[0:3], 0 offset:796
	buffer_store_dword v208, off, s[0:3], 0 offset:792
	v_fma_f64 v[126:127], v[112:113], v[82:83], v[126:127]
	v_fma_f64 v[126:127], v[122:123], v[84:85], v[126:127]
	;; [unrolled: 1-line block ×3, first 2 shown]
	v_mul_f64 v[126:127], v[124:125], v[78:79]
	v_mul_f64 v[124:125], v[124:125], v[72:73]
	buffer_store_dword v207, off, s[0:3], 0 offset:188
	buffer_store_dword v206, off, s[0:3], 0 offset:184
	;; [unrolled: 1-line block ×4, first 2 shown]
	v_fma_f64 v[126:127], v[112:113], v[90:91], v[126:127]
	v_fma_f64 v[112:113], v[112:113], v[68:69], v[124:125]
	;; [unrolled: 1-line block ×6, first 2 shown]
	buffer_store_dword v205, off, s[0:3], 0 offset:196
	buffer_store_dword v204, off, s[0:3], 0 offset:192
	;; [unrolled: 1-line block ×8, first 2 shown]
	s_clause 0x1
	buffer_load_dword v122, off, s[0:3], 0 offset:1168
	buffer_load_dword v123, off, s[0:3], 0 offset:1172
	v_mul_f64 v[112:113], v[118:119], v[118:119]
	v_fma_f64 v[112:113], v[114:115], v[114:115], v[112:113]
	v_fma_f64 v[112:113], v[116:117], v[116:117], v[112:113]
	s_waitcnt vmcnt(0)
	v_fma_f64 v[112:113], v[252:253], v[112:113], v[122:123]
	v_mul_f64 v[122:123], v[118:119], v[104:105]
	buffer_store_dword v113, off, s[0:3], 0 offset:228
	buffer_store_dword v112, off, s[0:3], 0 offset:224
	v_fma_f64 v[122:123], v[114:115], v[98:99], v[122:123]
	v_fma_f64 v[122:123], v[116:117], v[100:101], v[122:123]
	v_fma_f64 v[198:199], v[252:253], v[122:123], v[198:199]
	v_mul_f64 v[122:123], v[118:119], v[94:95]
	buffer_store_dword v199, off, s[0:3], 0 offset:236
	buffer_store_dword v198, off, s[0:3], 0 offset:232
	buffer_store_dword v199, off, s[0:3], 0 offset:324
	buffer_store_dword v198, off, s[0:3], 0 offset:320
	v_fma_f64 v[122:123], v[114:115], v[246:247], v[122:123]
	v_fma_f64 v[122:123], v[116:117], v[248:249], v[122:123]
	v_fma_f64 v[196:197], v[252:253], v[122:123], v[196:197]
	v_mul_f64 v[122:123], v[118:119], v[222:223]
	buffer_store_dword v197, off, s[0:3], 0 offset:244
	buffer_store_dword v196, off, s[0:3], 0 offset:240
	;; [unrolled: 8-line block ×6, first 2 shown]
	buffer_store_dword v189, off, s[0:3], 0 offset:804
	buffer_store_dword v188, off, s[0:3], 0 offset:800
	v_fma_f64 v[122:123], v[114:115], v[82:83], v[122:123]
	v_fma_f64 v[122:123], v[116:117], v[84:85], v[122:123]
	;; [unrolled: 1-line block ×3, first 2 shown]
	v_mul_f64 v[122:123], v[118:119], v[78:79]
	v_mul_f64 v[118:119], v[118:119], v[72:73]
	buffer_store_dword v187, off, s[0:3], 0 offset:284
	buffer_store_dword v186, off, s[0:3], 0 offset:280
	;; [unrolled: 1-line block ×4, first 2 shown]
	v_fma_f64 v[122:123], v[114:115], v[90:91], v[122:123]
	v_fma_f64 v[114:115], v[114:115], v[68:69], v[118:119]
	;; [unrolled: 1-line block ×6, first 2 shown]
	buffer_store_dword v185, off, s[0:3], 0 offset:292
	buffer_store_dword v184, off, s[0:3], 0 offset:288
	;; [unrolled: 1-line block ×8, first 2 shown]
	s_clause 0x1
	buffer_load_dword v116, off, s[0:3], 0 offset:1472
	buffer_load_dword v117, off, s[0:3], 0 offset:1476
	v_mul_f64 v[114:115], v[104:105], v[104:105]
	v_fma_f64 v[114:115], v[98:99], v[98:99], v[114:115]
	v_fma_f64 v[114:115], v[100:101], v[100:101], v[114:115]
	s_waitcnt vmcnt(0)
	v_fma_f64 v[114:115], v[252:253], v[114:115], v[116:117]
	v_mul_f64 v[116:117], v[104:105], v[94:95]
	buffer_store_dword v115, off, s[0:3], 0 offset:332
	buffer_store_dword v114, off, s[0:3], 0 offset:328
	v_fma_f64 v[116:117], v[98:99], v[246:247], v[116:117]
	v_fma_f64 v[116:117], v[100:101], v[248:249], v[116:117]
	v_fma_f64 v[178:179], v[252:253], v[116:117], v[178:179]
	v_mul_f64 v[116:117], v[104:105], v[222:223]
	buffer_store_dword v179, off, s[0:3], 0 offset:340
	buffer_store_dword v178, off, s[0:3], 0 offset:336
	buffer_store_dword v179, off, s[0:3], 0 offset:428
	buffer_store_dword v178, off, s[0:3], 0 offset:424
	v_fma_f64 v[116:117], v[98:99], v[180:181], v[116:117]
	v_fma_f64 v[116:117], v[100:101], v[200:201], v[116:117]
	v_fma_f64 v[176:177], v[252:253], v[116:117], v[176:177]
	v_mul_f64 v[116:117], v[104:105], v[162:163]
	buffer_store_dword v177, off, s[0:3], 0 offset:348
	buffer_store_dword v176, off, s[0:3], 0 offset:344
	;; [unrolled: 8-line block ×5, first 2 shown]
	buffer_store_dword v171, off, s[0:3], 0 offset:812
	buffer_store_dword v170, off, s[0:3], 0 offset:808
	v_fma_f64 v[116:117], v[98:99], v[82:83], v[116:117]
	v_fma_f64 v[116:117], v[100:101], v[84:85], v[116:117]
	;; [unrolled: 1-line block ×3, first 2 shown]
	v_mul_f64 v[116:117], v[104:105], v[78:79]
	v_mul_f64 v[104:105], v[104:105], v[72:73]
	buffer_store_dword v169, off, s[0:3], 0 offset:380
	buffer_store_dword v168, off, s[0:3], 0 offset:376
	;; [unrolled: 1-line block ×4, first 2 shown]
	v_fma_f64 v[116:117], v[98:99], v[90:91], v[116:117]
	v_fma_f64 v[98:99], v[98:99], v[68:69], v[104:105]
	v_fma_f64 v[116:117], v[100:101], v[80:81], v[116:117]
	v_fma_f64 v[98:99], v[100:101], v[70:71], v[98:99]
	v_mul_f64 v[100:101], v[94:95], v[94:95]
	v_fma_f64 v[166:167], v[252:253], v[116:117], v[166:167]
	v_fma_f64 v[98:99], v[252:253], v[98:99], v[164:165]
	buffer_store_dword v167, off, s[0:3], 0 offset:388
	buffer_store_dword v166, off, s[0:3], 0 offset:384
	;; [unrolled: 1-line block ×8, first 2 shown]
	s_clause 0x1
	buffer_load_dword v104, off, s[0:3], 0 offset:1408
	buffer_load_dword v105, off, s[0:3], 0 offset:1412
	v_fma_f64 v[100:101], v[246:247], v[246:247], v[100:101]
	v_mul_f64 v[116:117], v[94:95], v[162:163]
	v_fma_f64 v[100:101], v[248:249], v[248:249], v[100:101]
	v_fma_f64 v[116:117], v[246:247], v[132:133], v[116:117]
	;; [unrolled: 1-line block ×3, first 2 shown]
	s_waitcnt vmcnt(0)
	v_fma_f64 v[100:101], v[252:253], v[100:101], v[104:105]
	v_mul_f64 v[104:105], v[94:95], v[222:223]
	buffer_store_dword v101, off, s[0:3], 0 offset:436
	buffer_store_dword v100, off, s[0:3], 0 offset:432
	v_fma_f64 v[104:105], v[246:247], v[180:181], v[104:105]
	v_fma_f64 v[104:105], v[248:249], v[200:201], v[104:105]
	;; [unrolled: 1-line block ×3, first 2 shown]
	buffer_store_dword v105, off, s[0:3], 0 offset:444
	buffer_store_dword v104, off, s[0:3], 0 offset:440
	;; [unrolled: 1-line block ×4, first 2 shown]
	s_clause 0x1
	buffer_load_dword v118, off, s[0:3], 0 offset:1392
	buffer_load_dword v119, off, s[0:3], 0 offset:1396
	s_waitcnt vmcnt(0)
	v_fma_f64 v[158:159], v[252:253], v[116:117], v[118:119]
	buffer_store_dword v159, off, s[0:3], 0 offset:452
	buffer_store_dword v158, off, s[0:3], 0 offset:448
	buffer_store_dword v159, off, s[0:3], 0 offset:628
	buffer_store_dword v158, off, s[0:3], 0 offset:624
	s_clause 0x1
	buffer_load_dword v118, off, s[0:3], 0 offset:1464
	buffer_load_dword v119, off, s[0:3], 0 offset:1468
	v_mul_f64 v[116:117], v[94:95], v[120:121]
	v_fma_f64 v[116:117], v[246:247], v[102:103], v[116:117]
	v_fma_f64 v[116:117], v[248:249], v[110:111], v[116:117]
	s_waitcnt vmcnt(0)
	v_fma_f64 v[156:157], v[252:253], v[116:117], v[118:119]
	buffer_store_dword v157, off, s[0:3], 0 offset:460
	buffer_store_dword v156, off, s[0:3], 0 offset:456
	buffer_store_dword v157, off, s[0:3], 0 offset:724
	buffer_store_dword v156, off, s[0:3], 0 offset:720
	s_clause 0x1
	buffer_load_dword v118, off, s[0:3], 0 offset:1456
	buffer_load_dword v119, off, s[0:3], 0 offset:1460
	v_mul_f64 v[116:117], v[94:95], v[96:97]
	v_fma_f64 v[116:117], v[246:247], v[88:89], v[116:117]
	v_fma_f64 v[116:117], v[248:249], v[92:93], v[116:117]
	;; [unrolled: 12-line block ×3, first 2 shown]
	s_waitcnt vmcnt(0)
	v_fma_f64 v[152:153], v[252:253], v[116:117], v[118:119]
	buffer_store_dword v153, off, s[0:3], 0 offset:476
	buffer_store_dword v152, off, s[0:3], 0 offset:472
	;; [unrolled: 1-line block ×4, first 2 shown]
	s_clause 0x1
	buffer_load_dword v118, off, s[0:3], 0 offset:1440
	buffer_load_dword v119, off, s[0:3], 0 offset:1444
	v_mul_f64 v[116:117], v[94:95], v[78:79]
	v_mul_f64 v[94:95], v[94:95], v[72:73]
	v_fma_f64 v[116:117], v[246:247], v[90:91], v[116:117]
	v_fma_f64 v[94:95], v[246:247], v[68:69], v[94:95]
	;; [unrolled: 1-line block ×4, first 2 shown]
	s_waitcnt vmcnt(0)
	v_fma_f64 v[150:151], v[252:253], v[116:117], v[118:119]
	buffer_store_dword v151, off, s[0:3], 0 offset:484
	buffer_store_dword v150, off, s[0:3], 0 offset:480
	;; [unrolled: 1-line block ×4, first 2 shown]
	s_clause 0x1
	buffer_load_dword v116, off, s[0:3], 0 offset:1432
	buffer_load_dword v117, off, s[0:3], 0 offset:1436
	s_waitcnt vmcnt(0)
	v_fma_f64 v[94:95], v[252:253], v[94:95], v[116:117]
	buffer_store_dword v95, off, s[0:3], 0 offset:492
	buffer_store_dword v94, off, s[0:3], 0 offset:488
	;; [unrolled: 1-line block ×4, first 2 shown]
	s_clause 0x1
	buffer_load_dword v118, off, s[0:3], 0 offset:1424
	buffer_load_dword v119, off, s[0:3], 0 offset:1428
	v_mul_f64 v[116:117], v[222:223], v[222:223]
	v_fma_f64 v[116:117], v[180:181], v[180:181], v[116:117]
	v_fma_f64 v[116:117], v[200:201], v[200:201], v[116:117]
	s_waitcnt vmcnt(0)
	v_fma_f64 v[246:247], v[252:253], v[116:117], v[118:119]
	buffer_store_dword v247, off, s[0:3], 0 offset:540
	buffer_store_dword v246, off, s[0:3], 0 offset:536
	s_clause 0x1
	buffer_load_dword v118, off, s[0:3], 0 offset:1416
	buffer_load_dword v119, off, s[0:3], 0 offset:1420
	v_mul_f64 v[116:117], v[222:223], v[162:163]
	v_fma_f64 v[116:117], v[180:181], v[132:133], v[116:117]
	v_fma_f64 v[116:117], v[200:201], v[146:147], v[116:117]
	s_waitcnt vmcnt(0)
	v_fma_f64 v[144:145], v[252:253], v[116:117], v[118:119]
	buffer_store_dword v145, off, s[0:3], 0 offset:548
	buffer_store_dword v144, off, s[0:3], 0 offset:544
	buffer_store_dword v145, off, s[0:3], 0 offset:636
	buffer_store_dword v144, off, s[0:3], 0 offset:632
	s_clause 0x1
	buffer_load_dword v118, off, s[0:3], 0 offset:1400
	buffer_load_dword v119, off, s[0:3], 0 offset:1404
	v_mul_f64 v[116:117], v[222:223], v[120:121]
	v_fma_f64 v[116:117], v[180:181], v[102:103], v[116:117]
	v_fma_f64 v[116:117], v[200:201], v[110:111], v[116:117]
	s_waitcnt vmcnt(0)
	v_fma_f64 v[142:143], v[252:253], v[116:117], v[118:119]
	buffer_store_dword v143, off, s[0:3], 0 offset:556
	buffer_store_dword v142, off, s[0:3], 0 offset:552
	;; [unrolled: 12-line block ×7, first 2 shown]
	s_clause 0x1
	buffer_load_dword v118, off, s[0:3], 0 offset:1360
	buffer_load_dword v119, off, s[0:3], 0 offset:1364
	v_mul_f64 v[116:117], v[162:163], v[120:121]
	v_fma_f64 v[116:117], v[132:133], v[102:103], v[116:117]
	v_fma_f64 v[116:117], v[146:147], v[110:111], v[116:117]
	s_waitcnt vmcnt(0)
	v_fma_f64 v[130:131], v[252:253], v[116:117], v[118:119]
	buffer_store_dword v131, off, s[0:3], 0 offset:652
	buffer_store_dword v130, off, s[0:3], 0 offset:648
	buffer_store_dword v131, off, s[0:3], 0 offset:740
	buffer_store_dword v130, off, s[0:3], 0 offset:736
	s_clause 0x1
	buffer_load_dword v118, off, s[0:3], 0 offset:1344
	buffer_load_dword v119, off, s[0:3], 0 offset:1348
	v_mul_f64 v[116:117], v[162:163], v[96:97]
	v_fma_f64 v[116:117], v[132:133], v[88:89], v[116:117]
	v_fma_f64 v[116:117], v[146:147], v[92:93], v[116:117]
	s_waitcnt vmcnt(0)
	v_fma_f64 v[128:129], v[252:253], v[116:117], v[118:119]
	buffer_store_dword v129, off, s[0:3], 0 offset:660
	buffer_store_dword v128, off, s[0:3], 0 offset:656
	buffer_store_dword v129, off, s[0:3], 0 offset:836
	buffer_store_dword v128, off, s[0:3], 0 offset:832
	;; [unrolled: 12-line block ×5, first 2 shown]
	s_clause 0x1
	buffer_load_dword v118, off, s[0:3], 0 offset:1312
	buffer_load_dword v119, off, s[0:3], 0 offset:1316
	v_mul_f64 v[116:117], v[120:121], v[120:121]
	v_fma_f64 v[116:117], v[102:103], v[102:103], v[116:117]
	v_fma_f64 v[116:117], v[110:111], v[110:111], v[116:117]
	s_waitcnt vmcnt(0)
	v_fma_f64 v[132:133], v[252:253], v[116:117], v[118:119]
	buffer_store_dword v133, off, s[0:3], 0 offset:748
	buffer_store_dword v132, off, s[0:3], 0 offset:744
	s_clause 0x1
	buffer_load_dword v118, off, s[0:3], 0 offset:1304
	buffer_load_dword v119, off, s[0:3], 0 offset:1308
	v_mul_f64 v[116:117], v[120:121], v[96:97]
	v_fma_f64 v[116:117], v[102:103], v[88:89], v[116:117]
	v_fma_f64 v[116:117], v[110:111], v[92:93], v[116:117]
	s_waitcnt vmcnt(0)
	v_fma_f64 v[118:119], v[252:253], v[116:117], v[118:119]
	buffer_store_dword v119, off, s[0:3], 0 offset:756
	buffer_store_dword v118, off, s[0:3], 0 offset:752
	;; [unrolled: 1-line block ×4, first 2 shown]
	s_clause 0x1
	buffer_load_dword v146, off, s[0:3], 0 offset:1296
	buffer_load_dword v147, off, s[0:3], 0 offset:1300
	v_mul_f64 v[116:117], v[120:121], v[86:87]
	v_fma_f64 v[116:117], v[102:103], v[82:83], v[116:117]
	v_fma_f64 v[116:117], v[110:111], v[84:85], v[116:117]
	s_waitcnt vmcnt(0)
	v_fma_f64 v[116:117], v[252:253], v[116:117], v[146:147]
	buffer_store_dword v117, off, s[0:3], 0 offset:764
	buffer_store_dword v116, off, s[0:3], 0 offset:760
	;; [unrolled: 1-line block ×4, first 2 shown]
	s_clause 0x1
	buffer_load_dword v148, off, s[0:3], 0 offset:1248
	buffer_load_dword v149, off, s[0:3], 0 offset:1252
	v_mul_f64 v[146:147], v[120:121], v[78:79]
	v_mul_f64 v[120:121], v[120:121], v[72:73]
	v_fma_f64 v[146:147], v[102:103], v[90:91], v[146:147]
	v_fma_f64 v[102:103], v[102:103], v[68:69], v[120:121]
	;; [unrolled: 1-line block ×4, first 2 shown]
	s_waitcnt vmcnt(0)
	v_fma_f64 v[146:147], v[252:253], v[146:147], v[148:149]
	buffer_store_dword v147, off, s[0:3], 0 offset:772
	buffer_store_dword v146, off, s[0:3], 0 offset:768
	;; [unrolled: 1-line block ×4, first 2 shown]
	s_clause 0x1
	buffer_load_dword v110, off, s[0:3], 0 offset:1280
	buffer_load_dword v111, off, s[0:3], 0 offset:1284
	s_waitcnt vmcnt(0)
	v_fma_f64 v[102:103], v[252:253], v[102:103], v[110:111]
	buffer_store_dword v103, off, s[0:3], 0 offset:780
	buffer_store_dword v102, off, s[0:3], 0 offset:776
	;; [unrolled: 1-line block ×4, first 2 shown]
	s_clause 0x1
	buffer_load_dword v120, off, s[0:3], 0 offset:1272
	buffer_load_dword v121, off, s[0:3], 0 offset:1276
	v_mul_f64 v[110:111], v[96:97], v[96:97]
	v_fma_f64 v[110:111], v[88:89], v[88:89], v[110:111]
	v_fma_f64 v[110:111], v[92:93], v[92:93], v[110:111]
	s_waitcnt vmcnt(0)
	v_fma_f64 v[110:111], v[252:253], v[110:111], v[120:121]
	buffer_store_dword v111, off, s[0:3], 0 offset:852
	buffer_store_dword v110, off, s[0:3], 0 offset:848
	s_clause 0x1
	buffer_load_dword v148, off, s[0:3], 0 offset:1264
	buffer_load_dword v149, off, s[0:3], 0 offset:1268
	v_mul_f64 v[120:121], v[96:97], v[86:87]
	v_fma_f64 v[120:121], v[88:89], v[82:83], v[120:121]
	v_fma_f64 v[120:121], v[92:93], v[84:85], v[120:121]
	s_waitcnt vmcnt(0)
	v_fma_f64 v[120:121], v[252:253], v[120:121], v[148:149]
	buffer_store_dword v121, off, s[0:3], 0 offset:860
	buffer_store_dword v120, off, s[0:3], 0 offset:856
	;; [unrolled: 1-line block ×4, first 2 shown]
	s_clause 0x1
	buffer_load_dword v160, off, s[0:3], 0 offset:1256
	buffer_load_dword v161, off, s[0:3], 0 offset:1260
	v_mul_f64 v[148:149], v[96:97], v[78:79]
	v_mul_f64 v[96:97], v[96:97], v[72:73]
	v_fma_f64 v[148:149], v[88:89], v[90:91], v[148:149]
	v_fma_f64 v[88:89], v[88:89], v[68:69], v[96:97]
	;; [unrolled: 1-line block ×4, first 2 shown]
	s_waitcnt vmcnt(0)
	v_fma_f64 v[162:163], v[252:253], v[148:149], v[160:161]
	buffer_store_dword v163, off, s[0:3], 0 offset:868
	buffer_store_dword v162, off, s[0:3], 0 offset:864
	;; [unrolled: 1-line block ×4, first 2 shown]
	s_clause 0x1
	buffer_load_dword v92, off, s[0:3], 0 offset:1232
	buffer_load_dword v93, off, s[0:3], 0 offset:1236
	s_waitcnt vmcnt(0)
	v_fma_f64 v[88:89], v[252:253], v[88:89], v[92:93]
	buffer_store_dword v89, off, s[0:3], 0 offset:876
	buffer_store_dword v88, off, s[0:3], 0 offset:872
	;; [unrolled: 1-line block ×4, first 2 shown]
	s_clause 0x1
	buffer_load_dword v96, off, s[0:3], 0 offset:1240
	buffer_load_dword v97, off, s[0:3], 0 offset:1244
	v_mul_f64 v[92:93], v[86:87], v[86:87]
	v_fma_f64 v[92:93], v[82:83], v[82:83], v[92:93]
	v_fma_f64 v[92:93], v[84:85], v[84:85], v[92:93]
	s_waitcnt vmcnt(0)
	v_fma_f64 v[92:93], v[252:253], v[92:93], v[96:97]
	buffer_store_dword v93, off, s[0:3], 0 offset:956
	buffer_store_dword v92, off, s[0:3], 0 offset:952
	s_clause 0x1
	buffer_load_dword v148, off, s[0:3], 0 offset:1224
	buffer_load_dword v149, off, s[0:3], 0 offset:1228
	v_mul_f64 v[96:97], v[86:87], v[78:79]
	v_mul_f64 v[86:87], v[86:87], v[72:73]
	v_fma_f64 v[96:97], v[82:83], v[90:91], v[96:97]
	v_fma_f64 v[82:83], v[82:83], v[68:69], v[86:87]
	;; [unrolled: 1-line block ×4, first 2 shown]
	s_waitcnt vmcnt(0)
	v_fma_f64 v[96:97], v[252:253], v[96:97], v[148:149]
	buffer_store_dword v97, off, s[0:3], 0 offset:964
	buffer_store_dword v96, off, s[0:3], 0 offset:960
	;; [unrolled: 1-line block ×4, first 2 shown]
	s_clause 0x1
	buffer_load_dword v84, off, s[0:3], 0 offset:1216
	buffer_load_dword v85, off, s[0:3], 0 offset:1220
	s_waitcnt vmcnt(0)
	v_fma_f64 v[82:83], v[252:253], v[82:83], v[84:85]
	buffer_store_dword v83, off, s[0:3], 0 offset:972
	buffer_store_dword v82, off, s[0:3], 0 offset:968
	;; [unrolled: 1-line block ×4, first 2 shown]
	s_clause 0x1
	buffer_load_dword v86, off, s[0:3], 0 offset:1208
	buffer_load_dword v87, off, s[0:3], 0 offset:1212
	v_mul_f64 v[84:85], v[78:79], v[78:79]
	v_mul_f64 v[78:79], v[78:79], v[72:73]
	;; [unrolled: 1-line block ×3, first 2 shown]
	v_fma_f64 v[84:85], v[90:91], v[90:91], v[84:85]
	v_fma_f64 v[78:79], v[90:91], v[68:69], v[78:79]
	;; [unrolled: 1-line block ×6, first 2 shown]
	s_waitcnt vmcnt(0)
	v_fma_f64 v[84:85], v[252:253], v[84:85], v[86:87]
	buffer_store_dword v85, off, s[0:3], 0 offset:1060
	buffer_store_dword v84, off, s[0:3], 0 offset:1056
	s_clause 0x3
	buffer_load_dword v80, off, s[0:3], 0 offset:1656
	buffer_load_dword v81, off, s[0:3], 0 offset:1660
	;; [unrolled: 1-line block ×4, first 2 shown]
	s_waitcnt vmcnt(0)
	v_fma_f64 v[78:79], v[252:253], v[78:79], v[86:87]
	buffer_store_dword v79, off, s[0:3], 0 offset:1068
	buffer_store_dword v78, off, s[0:3], 0 offset:1064
	;; [unrolled: 1-line block ×4, first 2 shown]
	s_clause 0x1
	buffer_load_dword v70, off, s[0:3], 0 offset:1192
	buffer_load_dword v71, off, s[0:3], 0 offset:1196
	s_waitcnt vmcnt(0)
	v_fma_f64 v[68:69], v[252:253], v[68:69], v[70:71]
	v_mul_f64 v[70:71], v[66:67], v[66:67]
	buffer_store_dword v69, off, s[0:3], 0 offset:1164
	buffer_store_dword v68, off, s[0:3], 0 offset:1160
	v_fma_f64 v[70:71], v[58:59], v[58:59], v[70:71]
	v_fma_f64 v[70:71], v[62:63], v[62:63], v[70:71]
	;; [unrolled: 1-line block ×3, first 2 shown]
	buffer_store_dword v71, off, s[0:3], 0 offset:20
	buffer_store_dword v70, off, s[0:3], 0 offset:1184 ; 4-byte Folded Spill
	buffer_store_dword v71, off, s[0:3], 0 offset:1188 ; 4-byte Folded Spill
	buffer_store_dword v70, off, s[0:3], 0 offset:16
	v_mul_f64 v[70:71], v[66:67], v[54:55]
	v_fma_f64 v[70:71], v[58:59], v[48:49], v[70:71]
	v_fma_f64 v[70:71], v[62:63], v[52:53], v[70:71]
	v_fma_f64 v[244:245], v[252:253], v[70:71], v[244:245]
	v_mul_f64 v[70:71], v[66:67], v[46:47]
	buffer_store_dword v245, off, s[0:3], 0 offset:28
	buffer_store_dword v244, off, s[0:3], 0 offset:24
	buffer_store_dword v245, off, s[0:3], 0 offset:116
	buffer_store_dword v244, off, s[0:3], 0 offset:112
	v_fma_f64 v[70:71], v[58:59], v[42:43], v[70:71]
	v_fma_f64 v[70:71], v[62:63], v[44:45], v[70:71]
	v_fma_f64 v[242:243], v[252:253], v[70:71], v[242:243]
	v_mul_f64 v[70:71], v[66:67], v[40:41]
	buffer_store_dword v243, off, s[0:3], 0 offset:36
	buffer_store_dword v242, off, s[0:3], 0 offset:32
	buffer_store_dword v243, off, s[0:3], 0 offset:212
	buffer_store_dword v242, off, s[0:3], 0 offset:208
	;; [unrolled: 8-line block ×8, first 2 shown]
	v_fma_f64 v[70:71], v[58:59], v[8:9], v[70:71]
	v_fma_f64 v[70:71], v[62:63], v[10:11], v[70:71]
	;; [unrolled: 1-line block ×3, first 2 shown]
	v_mul_f64 v[70:71], v[66:67], v[6:7]
	v_mul_f64 v[66:67], v[66:67], v[0:1]
	buffer_store_dword v229, off, s[0:3], 0 offset:92
	buffer_store_dword v228, off, s[0:3], 0 offset:88
	;; [unrolled: 1-line block ×4, first 2 shown]
	v_fma_f64 v[70:71], v[58:59], v[2:3], v[70:71]
	v_fma_f64 v[58:59], v[58:59], v[254:255], v[66:67]
	;; [unrolled: 1-line block ×6, first 2 shown]
	v_mul_f64 v[58:59], v[54:55], v[54:55]
	s_clause 0x1
	buffer_load_dword v71, off, s[0:3], 0 offset:1632
	buffer_load_dword v72, off, s[0:3], 0 offset:1636
	buffer_store_dword v227, off, s[0:3], 0 offset:100
	buffer_store_dword v226, off, s[0:3], 0 offset:96
	;; [unrolled: 1-line block ×8, first 2 shown]
	v_fma_f64 v[58:59], v[48:49], v[48:49], v[58:59]
	v_fma_f64 v[58:59], v[52:53], v[52:53], v[58:59]
	;; [unrolled: 1-line block ×3, first 2 shown]
	buffer_store_dword v59, off, s[0:3], 0 offset:124
	buffer_store_dword v58, off, s[0:3], 0 offset:1176 ; 4-byte Folded Spill
	buffer_store_dword v59, off, s[0:3], 0 offset:1180 ; 4-byte Folded Spill
	buffer_store_dword v58, off, s[0:3], 0 offset:120
	v_mul_f64 v[58:59], v[54:55], v[46:47]
	v_fma_f64 v[58:59], v[48:49], v[42:43], v[58:59]
	v_fma_f64 v[58:59], v[52:53], v[44:45], v[58:59]
	v_fma_f64 v[220:221], v[252:253], v[58:59], v[220:221]
	v_mul_f64 v[58:59], v[54:55], v[40:41]
	buffer_store_dword v221, off, s[0:3], 0 offset:132
	buffer_store_dword v220, off, s[0:3], 0 offset:128
	buffer_store_dword v221, off, s[0:3], 0 offset:220
	buffer_store_dword v220, off, s[0:3], 0 offset:216
	v_fma_f64 v[58:59], v[48:49], v[36:37], v[58:59]
	v_fma_f64 v[58:59], v[52:53], v[38:39], v[58:59]
	v_fma_f64 v[218:219], v[252:253], v[58:59], v[218:219]
	v_mul_f64 v[58:59], v[54:55], v[34:35]
	buffer_store_dword v219, off, s[0:3], 0 offset:140
	buffer_store_dword v218, off, s[0:3], 0 offset:136
	buffer_store_dword v219, off, s[0:3], 0 offset:316
	buffer_store_dword v218, off, s[0:3], 0 offset:312
	;; [unrolled: 8-line block ×7, first 2 shown]
	v_fma_f64 v[58:59], v[48:49], v[8:9], v[58:59]
	v_fma_f64 v[58:59], v[52:53], v[10:11], v[58:59]
	;; [unrolled: 1-line block ×3, first 2 shown]
	v_mul_f64 v[58:59], v[54:55], v[6:7]
	v_mul_f64 v[54:55], v[54:55], v[0:1]
	buffer_store_dword v207, off, s[0:3], 0 offset:188
	buffer_store_dword v206, off, s[0:3], 0 offset:184
	buffer_store_dword v207, off, s[0:3], 0 offset:892
	buffer_store_dword v206, off, s[0:3], 0 offset:888
	v_fma_f64 v[58:59], v[48:49], v[2:3], v[58:59]
	v_fma_f64 v[48:49], v[48:49], v[254:255], v[54:55]
	;; [unrolled: 1-line block ×6, first 2 shown]
	v_mul_f64 v[48:49], v[46:47], v[46:47]
	buffer_store_dword v205, off, s[0:3], 0 offset:196
	buffer_store_dword v204, off, s[0:3], 0 offset:192
	;; [unrolled: 1-line block ×4, first 2 shown]
	s_clause 0x1
	buffer_load_dword v53, off, s[0:3], 0 offset:1552
	buffer_load_dword v54, off, s[0:3], 0 offset:1556
	v_fma_f64 v[48:49], v[42:43], v[42:43], v[48:49]
	buffer_store_dword v203, off, s[0:3], 0 offset:204
	buffer_store_dword v202, off, s[0:3], 0 offset:200
	;; [unrolled: 1-line block ×4, first 2 shown]
	v_fma_f64 v[48:49], v[44:45], v[44:45], v[48:49]
	v_fma_f64 v[48:49], v[252:253], v[48:49], v[112:113]
	buffer_store_dword v49, off, s[0:3], 0 offset:228
	buffer_store_dword v48, off, s[0:3], 0 offset:1168 ; 4-byte Folded Spill
	buffer_store_dword v49, off, s[0:3], 0 offset:1172 ; 4-byte Folded Spill
	buffer_store_dword v48, off, s[0:3], 0 offset:224
	v_mul_f64 v[48:49], v[46:47], v[40:41]
	v_fma_f64 v[48:49], v[42:43], v[36:37], v[48:49]
	v_fma_f64 v[48:49], v[44:45], v[38:39], v[48:49]
	v_fma_f64 v[198:199], v[252:253], v[48:49], v[198:199]
	v_mul_f64 v[48:49], v[46:47], v[34:35]
	buffer_store_dword v199, off, s[0:3], 0 offset:236
	buffer_store_dword v198, off, s[0:3], 0 offset:232
	buffer_store_dword v199, off, s[0:3], 0 offset:324
	buffer_store_dword v198, off, s[0:3], 0 offset:320
	v_fma_f64 v[48:49], v[42:43], v[30:31], v[48:49]
	v_fma_f64 v[48:49], v[44:45], v[32:33], v[48:49]
	v_fma_f64 v[196:197], v[252:253], v[48:49], v[196:197]
	v_mul_f64 v[48:49], v[46:47], v[28:29]
	buffer_store_dword v197, off, s[0:3], 0 offset:244
	buffer_store_dword v196, off, s[0:3], 0 offset:240
	buffer_store_dword v197, off, s[0:3], 0 offset:420
	buffer_store_dword v196, off, s[0:3], 0 offset:416
	;; [unrolled: 8-line block ×6, first 2 shown]
	v_fma_f64 v[48:49], v[42:43], v[8:9], v[48:49]
	v_fma_f64 v[48:49], v[44:45], v[10:11], v[48:49]
	;; [unrolled: 1-line block ×3, first 2 shown]
	v_mul_f64 v[48:49], v[46:47], v[6:7]
	v_mul_f64 v[46:47], v[46:47], v[0:1]
	buffer_store_dword v187, off, s[0:3], 0 offset:284
	buffer_store_dword v186, off, s[0:3], 0 offset:280
	;; [unrolled: 1-line block ×4, first 2 shown]
	v_fma_f64 v[48:49], v[42:43], v[2:3], v[48:49]
	v_fma_f64 v[42:43], v[42:43], v[254:255], v[46:47]
	;; [unrolled: 1-line block ×6, first 2 shown]
	v_mul_f64 v[42:43], v[40:41], v[40:41]
	buffer_store_dword v185, off, s[0:3], 0 offset:292
	buffer_store_dword v184, off, s[0:3], 0 offset:288
	;; [unrolled: 1-line block ×4, first 2 shown]
	s_clause 0x1
	buffer_load_dword v45, off, s[0:3], 0 offset:1720
	buffer_load_dword v46, off, s[0:3], 0 offset:1724
	v_fma_f64 v[42:43], v[36:37], v[36:37], v[42:43]
	buffer_store_dword v183, off, s[0:3], 0 offset:300
	buffer_store_dword v182, off, s[0:3], 0 offset:296
	;; [unrolled: 1-line block ×4, first 2 shown]
	v_fma_f64 v[42:43], v[38:39], v[38:39], v[42:43]
	v_fma_f64 v[248:249], v[252:253], v[42:43], v[114:115]
	v_mul_f64 v[42:43], v[40:41], v[34:35]
	buffer_store_dword v249, off, s[0:3], 0 offset:332
	buffer_store_dword v248, off, s[0:3], 0 offset:328
	v_fma_f64 v[42:43], v[36:37], v[30:31], v[42:43]
	v_fma_f64 v[42:43], v[38:39], v[32:33], v[42:43]
	v_fma_f64 v[178:179], v[252:253], v[42:43], v[178:179]
	v_mul_f64 v[42:43], v[40:41], v[28:29]
	buffer_store_dword v179, off, s[0:3], 0 offset:340
	buffer_store_dword v178, off, s[0:3], 0 offset:336
	buffer_store_dword v179, off, s[0:3], 0 offset:428
	buffer_store_dword v178, off, s[0:3], 0 offset:424
	v_fma_f64 v[42:43], v[36:37], v[24:25], v[42:43]
	v_fma_f64 v[42:43], v[38:39], v[26:27], v[42:43]
	v_fma_f64 v[176:177], v[252:253], v[42:43], v[176:177]
	v_mul_f64 v[42:43], v[40:41], v[22:23]
	buffer_store_dword v177, off, s[0:3], 0 offset:348
	buffer_store_dword v176, off, s[0:3], 0 offset:344
	;; [unrolled: 8-line block ×5, first 2 shown]
	buffer_store_dword v171, off, s[0:3], 0 offset:812
	buffer_store_dword v170, off, s[0:3], 0 offset:808
	v_fma_f64 v[42:43], v[36:37], v[8:9], v[42:43]
	v_fma_f64 v[42:43], v[38:39], v[10:11], v[42:43]
	;; [unrolled: 1-line block ×3, first 2 shown]
	v_mul_f64 v[42:43], v[40:41], v[6:7]
	v_mul_f64 v[40:41], v[40:41], v[0:1]
	buffer_store_dword v169, off, s[0:3], 0 offset:380
	buffer_store_dword v168, off, s[0:3], 0 offset:376
	;; [unrolled: 1-line block ×4, first 2 shown]
	v_fma_f64 v[42:43], v[36:37], v[2:3], v[42:43]
	v_fma_f64 v[36:37], v[36:37], v[254:255], v[40:41]
	v_fma_f64 v[42:43], v[38:39], v[4:5], v[42:43]
	v_fma_f64 v[36:37], v[38:39], v[250:251], v[36:37]
	v_fma_f64 v[166:167], v[252:253], v[42:43], v[166:167]
	v_fma_f64 v[164:165], v[252:253], v[36:37], v[98:99]
	v_mul_f64 v[36:37], v[34:35], v[34:35]
	s_clause 0x1
	buffer_load_dword v43, off, s[0:3], 0 offset:1704
	buffer_load_dword v44, off, s[0:3], 0 offset:1708
	buffer_store_dword v167, off, s[0:3], 0 offset:388
	buffer_store_dword v166, off, s[0:3], 0 offset:384
	;; [unrolled: 1-line block ×4, first 2 shown]
	s_clause 0x1
	buffer_load_dword v41, off, s[0:3], 0 offset:1696
	buffer_load_dword v42, off, s[0:3], 0 offset:1700
	v_fma_f64 v[36:37], v[30:31], v[30:31], v[36:37]
	s_clause 0x1
	buffer_load_dword v39, off, s[0:3], 0 offset:1680
	buffer_load_dword v40, off, s[0:3], 0 offset:1684
	buffer_store_dword v165, off, s[0:3], 0 offset:396
	buffer_store_dword v164, off, s[0:3], 0 offset:392
	;; [unrolled: 1-line block ×4, first 2 shown]
	v_fma_f64 v[36:37], v[32:33], v[32:33], v[36:37]
	v_fma_f64 v[222:223], v[252:253], v[36:37], v[100:101]
	v_mul_f64 v[36:37], v[34:35], v[28:29]
	buffer_store_dword v223, off, s[0:3], 0 offset:436
	buffer_store_dword v222, off, s[0:3], 0 offset:432
	v_fma_f64 v[36:37], v[30:31], v[24:25], v[36:37]
	v_fma_f64 v[36:37], v[32:33], v[26:27], v[36:37]
	v_fma_f64 v[160:161], v[252:253], v[36:37], v[104:105]
	v_mul_f64 v[36:37], v[34:35], v[22:23]
	buffer_store_dword v161, off, s[0:3], 0 offset:444
	buffer_store_dword v160, off, s[0:3], 0 offset:440
	buffer_store_dword v161, off, s[0:3], 0 offset:532
	buffer_store_dword v160, off, s[0:3], 0 offset:528
	v_fma_f64 v[36:37], v[30:31], v[18:19], v[36:37]
	v_fma_f64 v[36:37], v[32:33], v[20:21], v[36:37]
	v_fma_f64 v[200:201], v[252:253], v[36:37], v[158:159]
	v_mul_f64 v[36:37], v[34:35], v[64:65]
	buffer_store_dword v201, off, s[0:3], 0 offset:452
	buffer_store_dword v200, off, s[0:3], 0 offset:448
	;; [unrolled: 8-line block ×4, first 2 shown]
	buffer_store_dword v157, off, s[0:3], 0 offset:820
	buffer_store_dword v156, off, s[0:3], 0 offset:816
	v_fma_f64 v[36:37], v[30:31], v[8:9], v[36:37]
	v_fma_f64 v[36:37], v[32:33], v[10:11], v[36:37]
	;; [unrolled: 1-line block ×3, first 2 shown]
	v_mul_f64 v[36:37], v[34:35], v[6:7]
	v_mul_f64 v[34:35], v[34:35], v[0:1]
	buffer_store_dword v155, off, s[0:3], 0 offset:476
	buffer_store_dword v154, off, s[0:3], 0 offset:472
	;; [unrolled: 1-line block ×4, first 2 shown]
	v_fma_f64 v[36:37], v[30:31], v[2:3], v[36:37]
	v_fma_f64 v[30:31], v[30:31], v[254:255], v[34:35]
	;; [unrolled: 1-line block ×6, first 2 shown]
	v_mul_f64 v[30:31], v[28:29], v[28:29]
	s_clause 0x1
	buffer_load_dword v37, off, s[0:3], 0 offset:1672
	buffer_load_dword v38, off, s[0:3], 0 offset:1676
	buffer_store_dword v153, off, s[0:3], 0 offset:484
	buffer_store_dword v152, off, s[0:3], 0 offset:480
	buffer_store_dword v153, off, s[0:3], 0 offset:1012
	buffer_store_dword v152, off, s[0:3], 0 offset:1008
	s_clause 0x1
	buffer_load_dword v35, off, s[0:3], 0 offset:1688
	buffer_load_dword v36, off, s[0:3], 0 offset:1692
	v_fma_f64 v[30:31], v[24:25], v[24:25], v[30:31]
	s_clause 0x1
	buffer_load_dword v33, off, s[0:3], 0 offset:1712
	buffer_load_dword v34, off, s[0:3], 0 offset:1716
	buffer_store_dword v151, off, s[0:3], 0 offset:492
	buffer_store_dword v150, off, s[0:3], 0 offset:488
	;; [unrolled: 1-line block ×4, first 2 shown]
	v_fma_f64 v[30:31], v[26:27], v[26:27], v[30:31]
	v_fma_f64 v[148:149], v[252:253], v[30:31], v[246:247]
	v_mul_f64 v[30:31], v[28:29], v[22:23]
	buffer_store_dword v149, off, s[0:3], 0 offset:540
	buffer_store_dword v148, off, s[0:3], 0 offset:536
	v_fma_f64 v[30:31], v[24:25], v[18:19], v[30:31]
	v_fma_f64 v[30:31], v[26:27], v[20:21], v[30:31]
	v_fma_f64 v[144:145], v[252:253], v[30:31], v[144:145]
	v_mul_f64 v[30:31], v[28:29], v[64:65]
	buffer_store_dword v145, off, s[0:3], 0 offset:548
	buffer_store_dword v144, off, s[0:3], 0 offset:544
	buffer_store_dword v145, off, s[0:3], 0 offset:636
	buffer_store_dword v144, off, s[0:3], 0 offset:632
	v_fma_f64 v[30:31], v[24:25], v[56:57], v[30:31]
	v_fma_f64 v[30:31], v[26:27], v[60:61], v[30:31]
	v_fma_f64 v[142:143], v[252:253], v[30:31], v[142:143]
	v_mul_f64 v[30:31], v[28:29], v[50:51]
	buffer_store_dword v143, off, s[0:3], 0 offset:556
	buffer_store_dword v142, off, s[0:3], 0 offset:552
	;; [unrolled: 8-line block ×3, first 2 shown]
	buffer_store_dword v141, off, s[0:3], 0 offset:828
	buffer_store_dword v140, off, s[0:3], 0 offset:824
	v_fma_f64 v[30:31], v[24:25], v[8:9], v[30:31]
	v_fma_f64 v[30:31], v[26:27], v[10:11], v[30:31]
	;; [unrolled: 1-line block ×3, first 2 shown]
	v_mul_f64 v[30:31], v[28:29], v[6:7]
	v_mul_f64 v[28:29], v[28:29], v[0:1]
	buffer_store_dword v139, off, s[0:3], 0 offset:572
	buffer_store_dword v138, off, s[0:3], 0 offset:568
	;; [unrolled: 1-line block ×4, first 2 shown]
	v_fma_f64 v[30:31], v[24:25], v[2:3], v[30:31]
	v_fma_f64 v[24:25], v[24:25], v[254:255], v[28:29]
	;; [unrolled: 1-line block ×6, first 2 shown]
	v_mul_f64 v[24:25], v[22:23], v[22:23]
	s_clause 0x1
	buffer_load_dword v30, off, s[0:3], 0 offset:1648
	buffer_load_dword v31, off, s[0:3], 0 offset:1652
	buffer_store_dword v48, off, s[0:3], 0 offset:580
	buffer_store_dword v47, off, s[0:3], 0 offset:576
	;; [unrolled: 1-line block ×4, first 2 shown]
	s_clause 0x1
	buffer_load_dword v28, off, s[0:3], 0 offset:1616
	buffer_load_dword v29, off, s[0:3], 0 offset:1620
	v_fma_f64 v[24:25], v[18:19], v[18:19], v[24:25]
	buffer_store_dword v27, off, s[0:3], 0 offset:588
	buffer_store_dword v26, off, s[0:3], 0 offset:584
	;; [unrolled: 1-line block ×4, first 2 shown]
	v_fma_f64 v[24:25], v[20:21], v[20:21], v[24:25]
	v_fma_f64 v[134:135], v[252:253], v[24:25], v[180:181]
	v_mul_f64 v[24:25], v[22:23], v[64:65]
	buffer_store_dword v135, off, s[0:3], 0 offset:644
	buffer_store_dword v134, off, s[0:3], 0 offset:640
	v_fma_f64 v[24:25], v[18:19], v[56:57], v[24:25]
	v_fma_f64 v[24:25], v[20:21], v[60:61], v[24:25]
	;; [unrolled: 1-line block ×3, first 2 shown]
	v_mul_f64 v[24:25], v[22:23], v[50:51]
	buffer_store_dword v131, off, s[0:3], 0 offset:652
	buffer_store_dword v130, off, s[0:3], 0 offset:648
	;; [unrolled: 1-line block ×4, first 2 shown]
	v_fma_f64 v[24:25], v[18:19], v[14:15], v[24:25]
	v_fma_f64 v[24:25], v[20:21], v[16:17], v[24:25]
	;; [unrolled: 1-line block ×3, first 2 shown]
	v_mul_f64 v[24:25], v[22:23], v[12:13]
	buffer_store_dword v129, off, s[0:3], 0 offset:660
	buffer_store_dword v128, off, s[0:3], 0 offset:656
	;; [unrolled: 1-line block ×4, first 2 shown]
	v_fma_f64 v[24:25], v[18:19], v[8:9], v[24:25]
	v_fma_f64 v[24:25], v[20:21], v[10:11], v[24:25]
	;; [unrolled: 1-line block ×3, first 2 shown]
	v_mul_f64 v[24:25], v[22:23], v[6:7]
	v_mul_f64 v[22:23], v[22:23], v[0:1]
	buffer_store_dword v127, off, s[0:3], 0 offset:668
	buffer_store_dword v126, off, s[0:3], 0 offset:664
	;; [unrolled: 1-line block ×4, first 2 shown]
	v_fma_f64 v[24:25], v[18:19], v[2:3], v[24:25]
	v_fma_f64 v[18:19], v[18:19], v[254:255], v[22:23]
	;; [unrolled: 1-line block ×6, first 2 shown]
	v_mul_f64 v[18:19], v[64:65], v[64:65]
	buffer_store_dword v125, off, s[0:3], 0 offset:676
	buffer_store_dword v124, off, s[0:3], 0 offset:672
	;; [unrolled: 1-line block ×8, first 2 shown]
	v_fma_f64 v[18:19], v[56:57], v[56:57], v[18:19]
	v_fma_f64 v[18:19], v[60:61], v[60:61], v[18:19]
	;; [unrolled: 1-line block ×3, first 2 shown]
	v_mul_f64 v[18:19], v[64:65], v[50:51]
	buffer_store_dword v115, off, s[0:3], 0 offset:748
	buffer_store_dword v114, off, s[0:3], 0 offset:744
	v_fma_f64 v[18:19], v[56:57], v[14:15], v[18:19]
	v_fma_f64 v[18:19], v[60:61], v[16:17], v[18:19]
	v_fma_f64 v[112:113], v[252:253], v[18:19], v[118:119]
	v_mul_f64 v[18:19], v[64:65], v[12:13]
	buffer_store_dword v113, off, s[0:3], 0 offset:756
	buffer_store_dword v112, off, s[0:3], 0 offset:752
	buffer_store_dword v113, off, s[0:3], 0 offset:844
	buffer_store_dword v112, off, s[0:3], 0 offset:840
	v_fma_f64 v[18:19], v[56:57], v[8:9], v[18:19]
	v_fma_f64 v[18:19], v[60:61], v[10:11], v[18:19]
	v_fma_f64 v[108:109], v[252:253], v[18:19], v[116:117]
	v_mul_f64 v[18:19], v[64:65], v[6:7]
	buffer_store_dword v109, off, s[0:3], 0 offset:764
	buffer_store_dword v108, off, s[0:3], 0 offset:760
	;; [unrolled: 8-line block ×3, first 2 shown]
	buffer_store_dword v107, off, s[0:3], 0 offset:1036
	buffer_store_dword v106, off, s[0:3], 0 offset:1032
	v_fma_f64 v[18:19], v[56:57], v[254:255], v[18:19]
	s_clause 0x7
	buffer_load_dword v65, off, s[0:3], 0 offset:1600
	buffer_load_dword v66, off, s[0:3], 0 offset:1604
	;; [unrolled: 1-line block ×8, first 2 shown]
	v_fma_f64 v[18:19], v[60:61], v[250:251], v[18:19]
	s_clause 0x3
	buffer_load_dword v61, off, s[0:3], 0 offset:1584
	buffer_load_dword v62, off, s[0:3], 0 offset:1588
	;; [unrolled: 1-line block ×4, first 2 shown]
	v_fma_f64 v[104:105], v[252:253], v[18:19], v[102:103]
	v_mul_f64 v[18:19], v[50:51], v[50:51]
	buffer_store_dword v105, off, s[0:3], 0 offset:780
	buffer_store_dword v104, off, s[0:3], 0 offset:776
	;; [unrolled: 1-line block ×4, first 2 shown]
	v_fma_f64 v[18:19], v[14:15], v[14:15], v[18:19]
	v_fma_f64 v[18:19], v[16:17], v[16:17], v[18:19]
	v_fma_f64 v[102:103], v[252:253], v[18:19], v[110:111]
	v_mul_f64 v[18:19], v[50:51], v[12:13]
	buffer_store_dword v103, off, s[0:3], 0 offset:852
	buffer_store_dword v102, off, s[0:3], 0 offset:848
	v_fma_f64 v[18:19], v[14:15], v[8:9], v[18:19]
	v_fma_f64 v[18:19], v[16:17], v[10:11], v[18:19]
	;; [unrolled: 1-line block ×3, first 2 shown]
	v_mul_f64 v[18:19], v[50:51], v[6:7]
	buffer_store_dword v101, off, s[0:3], 0 offset:860
	buffer_store_dword v100, off, s[0:3], 0 offset:856
	;; [unrolled: 1-line block ×4, first 2 shown]
	v_fma_f64 v[18:19], v[14:15], v[2:3], v[18:19]
	v_fma_f64 v[18:19], v[16:17], v[4:5], v[18:19]
	;; [unrolled: 1-line block ×3, first 2 shown]
	v_mul_f64 v[18:19], v[50:51], v[0:1]
	buffer_store_dword v99, off, s[0:3], 0 offset:868
	buffer_store_dword v98, off, s[0:3], 0 offset:864
	;; [unrolled: 1-line block ×4, first 2 shown]
	v_fma_f64 v[14:15], v[14:15], v[254:255], v[18:19]
	s_clause 0x3
	buffer_load_dword v51, off, s[0:3], 0 offset:1544
	buffer_load_dword v52, off, s[0:3], 0 offset:1548
	;; [unrolled: 1-line block ×4, first 2 shown]
	v_fma_f64 v[14:15], v[16:17], v[250:251], v[14:15]
	v_fma_f64 v[94:95], v[252:253], v[14:15], v[88:89]
	v_mul_f64 v[14:15], v[12:13], v[12:13]
	buffer_store_dword v95, off, s[0:3], 0 offset:876
	buffer_store_dword v94, off, s[0:3], 0 offset:872
	;; [unrolled: 1-line block ×4, first 2 shown]
	v_fma_f64 v[14:15], v[8:9], v[8:9], v[14:15]
	v_fma_f64 v[14:15], v[10:11], v[10:11], v[14:15]
	;; [unrolled: 1-line block ×3, first 2 shown]
	v_mul_f64 v[14:15], v[12:13], v[6:7]
	v_mul_f64 v[12:13], v[12:13], v[0:1]
	buffer_store_dword v93, off, s[0:3], 0 offset:956
	buffer_store_dword v92, off, s[0:3], 0 offset:952
	v_fma_f64 v[14:15], v[8:9], v[2:3], v[14:15]
	v_fma_f64 v[8:9], v[8:9], v[254:255], v[12:13]
	;; [unrolled: 1-line block ×6, first 2 shown]
	v_mul_f64 v[8:9], v[6:7], v[6:7]
	v_mul_f64 v[6:7], v[6:7], v[0:1]
	;; [unrolled: 1-line block ×3, first 2 shown]
	buffer_store_dword v91, off, s[0:3], 0 offset:964
	buffer_store_dword v90, off, s[0:3], 0 offset:960
	;; [unrolled: 1-line block ×4, first 2 shown]
	s_clause 0x1
	buffer_load_dword v82, off, s[0:3], 0 offset:1664
	buffer_load_dword v83, off, s[0:3], 0 offset:1668
	v_fma_f64 v[8:9], v[2:3], v[2:3], v[8:9]
	v_fma_f64 v[2:3], v[2:3], v[254:255], v[6:7]
	;; [unrolled: 1-line block ×3, first 2 shown]
	buffer_store_dword v89, off, s[0:3], 0 offset:972
	buffer_store_dword v88, off, s[0:3], 0 offset:968
	;; [unrolled: 1-line block ×4, first 2 shown]
	v_fma_f64 v[8:9], v[4:5], v[4:5], v[8:9]
	v_fma_f64 v[2:3], v[4:5], v[250:251], v[2:3]
	;; [unrolled: 1-line block ×5, first 2 shown]
	buffer_store_dword v87, off, s[0:3], 0 offset:1060
	buffer_store_dword v86, off, s[0:3], 0 offset:1056
	s_clause 0x1
	buffer_load_dword v78, off, s[0:3], 0 offset:1640
	buffer_load_dword v79, off, s[0:3], 0 offset:1644
	buffer_store_dword v85, off, s[0:3], 0 offset:1068
	buffer_store_dword v84, off, s[0:3], 0 offset:1064
	;; [unrolled: 1-line block ×4, first 2 shown]
	v_fma_f64 v[96:97], v[252:253], v[0:1], v[68:69]
	s_clause 0x3
	buffer_load_dword v69, off, s[0:3], 0 offset:1624
	buffer_load_dword v70, off, s[0:3], 0 offset:1628
	;; [unrolled: 1-line block ×4, first 2 shown]
	buffer_store_dword v97, off, s[0:3], 0 offset:1164
	buffer_store_dword v96, off, s[0:3], 0 offset:1160
	s_cbranch_vccz .LBB0_5
; %bb.6:                                ;   in Loop: Header=BB0_4 Depth=2
	s_clause 0x5
	buffer_load_dword v4, off, s[0:3], 0 offset:1184
	buffer_load_dword v5, off, s[0:3], 0 offset:1188
	buffer_load_dword v2, off, s[0:3], 0 offset:1176
	buffer_load_dword v3, off, s[0:3], 0 offset:1180
	buffer_load_dword v0, off, s[0:3], 0 offset:1168
	buffer_load_dword v1, off, s[0:3], 0 offset:1172
	s_mov_b32 s18, 8
	s_and_b32 vcc_lo, exec_lo, s21
	s_mov_b32 s4, 0
	s_cbranch_vccnz .LBB0_2
; %bb.7:                                ;   in Loop: Header=BB0_4 Depth=2
	s_mov_b64 s[16:17], s[12:13]
	s_branch .LBB0_4
.LBB0_8:
	s_waitcnt vmcnt(0)
	v_mov_b32_e32 v0, 0
	v_mov_b32_e32 v1, 0
.LBB0_9:                                ; =>This Inner Loop Header: Depth=1
	v_add_nc_u32_e64 v69, s4, 16
	s_addk_i32 s4, 0x120
	s_clause 0x3e
	buffer_load_dword v2, v69, s[0:3], 0 offen
	buffer_load_dword v3, v69, s[0:3], 0 offen offset:4
	buffer_load_dword v5, v69, s[0:3], 0 offen offset:100
	;; [unrolled: 1-line block ×62, first 2 shown]
	s_clause 0x8
	buffer_load_dword v61, v69, s[0:3], 0 offen offset:188
	buffer_load_dword v67, v69, s[0:3], 0 offen offset:260
	buffer_load_dword v68, v69, s[0:3], 0 offen offset:280
	buffer_load_dword v70, v69, s[0:3], 0 offen offset:272
	buffer_load_dword v72, v69, s[0:3], 0 offen offset:264
	buffer_load_dword v66, v69, s[0:3], 0 offen offset:256
	buffer_load_dword v73, v69, s[0:3], 0 offen offset:268
	buffer_load_dword v71, v69, s[0:3], 0 offen offset:276
	buffer_load_dword v69, v69, s[0:3], 0 offen offset:284
	s_cmpk_lg_i32 s4, 0x480
	s_waitcnt vmcnt(62)
	v_add_f64 v[2:3], v[2:3], 0
	v_add_f64 v[4:5], v[4:5], 0
	;; [unrolled: 1-line block ×3, first 2 shown]
	s_waitcnt vmcnt(55)
	v_add_f64 v[12:13], v[14:15], 0
	v_add_f64 v[4:5], v[4:5], v[10:11]
	s_waitcnt vmcnt(53)
	v_add_f64 v[2:3], v[2:3], v[22:23]
	s_waitcnt vmcnt(52)
	v_add_f64 v[10:11], v[12:13], v[20:21]
	v_add_f64 v[4:5], v[4:5], v[8:9]
	s_waitcnt vmcnt(48)
	v_add_f64 v[2:3], v[2:3], v[24:25]
	v_add_f64 v[8:9], v[10:11], v[18:19]
	;; [unrolled: 1-line block ×3, first 2 shown]
	s_waitcnt vmcnt(46)
	v_add_f64 v[2:3], v[2:3], v[26:27]
	v_add_f64 v[6:7], v[8:9], v[16:17]
	s_waitcnt vmcnt(41)
	v_add_f64 v[4:5], v[4:5], v[28:29]
	s_waitcnt vmcnt(39)
	v_add_f64 v[2:3], v[2:3], v[36:37]
	s_waitcnt vmcnt(31)
	v_add_f64 v[6:7], v[6:7], v[38:39]
	v_add_f64 v[4:5], v[4:5], v[34:35]
	s_waitcnt vmcnt(29)
	v_add_f64 v[2:3], v[2:3], v[46:47]
	s_waitcnt vmcnt(28)
	v_add_f64 v[6:7], v[6:7], v[44:45]
	v_add_f64 v[4:5], v[4:5], v[32:33]
	s_waitcnt vmcnt(24)
	v_add_f64 v[2:3], v[2:3], v[48:49]
	v_add_f64 v[6:7], v[6:7], v[42:43]
	;; [unrolled: 1-line block ×3, first 2 shown]
	s_waitcnt vmcnt(19)
	v_add_f64 v[2:3], v[2:3], v[50:51]
	v_add_f64 v[6:7], v[6:7], v[40:41]
	s_waitcnt vmcnt(11)
	v_add_f64 v[4:5], v[4:5], v[58:59]
	v_add_f64 v[2:3], v[2:3], v[56:57]
	;; [unrolled: 3-line block ×3, first 2 shown]
	v_add_f64 v[2:3], v[2:3], v[54:55]
	s_waitcnt vmcnt(2)
	v_add_f64 v[6:7], v[6:7], v[72:73]
	v_add_f64 v[4:5], v[4:5], v[62:63]
	v_add_f64 v[2:3], v[2:3], v[52:53]
	s_waitcnt vmcnt(1)
	v_add_f64 v[6:7], v[6:7], v[70:71]
	v_add_f64 v[4:5], v[4:5], v[60:61]
	;; [unrolled: 4-line block ×3, first 2 shown]
	v_add_f64 v[0:1], v[0:1], v[2:3]
	s_cbranch_scc1 .LBB0_9
; %bb.10:
	s_clause 0x1
	buffer_load_dword v2, off, s[0:3], 0 offset:1824
	buffer_load_dword v3, off, s[0:3], 0 offset:1828
	s_waitcnt vmcnt(1)
	v_add_co_u32 v2, vcc_lo, s8, v2
	s_waitcnt vmcnt(0)
	v_add_co_ci_u32_e64 v3, null, s9, v3, vcc_lo
	global_store_dwordx2 v[2:3], v[0:1], off
.LBB0_11:
	s_endpgm
	.section	.rodata,"a",@progbits
	.p2align	6, 0x0
	.amdhsa_kernel _ZN8rajaperf4apps6edge3dILm256EEEvPdS2_S2_S2_S2_S2_S2_S2_S2_S2_S2_S2_S2_S2_S2_S2_S2_S2_S2_S2_S2_S2_S2_S2_S2_ll
		.amdhsa_group_segment_fixed_size 0
		.amdhsa_private_segment_fixed_size 1840
		.amdhsa_kernarg_size 216
		.amdhsa_user_sgpr_count 6
		.amdhsa_user_sgpr_private_segment_buffer 1
		.amdhsa_user_sgpr_dispatch_ptr 0
		.amdhsa_user_sgpr_queue_ptr 0
		.amdhsa_user_sgpr_kernarg_segment_ptr 1
		.amdhsa_user_sgpr_dispatch_id 0
		.amdhsa_user_sgpr_flat_scratch_init 0
		.amdhsa_user_sgpr_private_segment_size 0
		.amdhsa_wavefront_size32 1
		.amdhsa_uses_dynamic_stack 0
		.amdhsa_system_sgpr_private_segment_wavefront_offset 1
		.amdhsa_system_sgpr_workgroup_id_x 1
		.amdhsa_system_sgpr_workgroup_id_y 0
		.amdhsa_system_sgpr_workgroup_id_z 0
		.amdhsa_system_sgpr_workgroup_info 0
		.amdhsa_system_vgpr_workitem_id 0
		.amdhsa_next_free_vgpr 256
		.amdhsa_next_free_sgpr 68
		.amdhsa_reserve_vcc 1
		.amdhsa_reserve_flat_scratch 0
		.amdhsa_float_round_mode_32 0
		.amdhsa_float_round_mode_16_64 0
		.amdhsa_float_denorm_mode_32 3
		.amdhsa_float_denorm_mode_16_64 3
		.amdhsa_dx10_clamp 1
		.amdhsa_ieee_mode 1
		.amdhsa_fp16_overflow 0
		.amdhsa_workgroup_processor_mode 1
		.amdhsa_memory_ordered 1
		.amdhsa_forward_progress 1
		.amdhsa_shared_vgpr_count 0
		.amdhsa_exception_fp_ieee_invalid_op 0
		.amdhsa_exception_fp_denorm_src 0
		.amdhsa_exception_fp_ieee_div_zero 0
		.amdhsa_exception_fp_ieee_overflow 0
		.amdhsa_exception_fp_ieee_underflow 0
		.amdhsa_exception_fp_ieee_inexact 0
		.amdhsa_exception_int_div_zero 0
	.end_amdhsa_kernel
	.section	.text._ZN8rajaperf4apps6edge3dILm256EEEvPdS2_S2_S2_S2_S2_S2_S2_S2_S2_S2_S2_S2_S2_S2_S2_S2_S2_S2_S2_S2_S2_S2_S2_S2_ll,"axG",@progbits,_ZN8rajaperf4apps6edge3dILm256EEEvPdS2_S2_S2_S2_S2_S2_S2_S2_S2_S2_S2_S2_S2_S2_S2_S2_S2_S2_S2_S2_S2_S2_S2_S2_ll,comdat
.Lfunc_end0:
	.size	_ZN8rajaperf4apps6edge3dILm256EEEvPdS2_S2_S2_S2_S2_S2_S2_S2_S2_S2_S2_S2_S2_S2_S2_S2_S2_S2_S2_S2_S2_S2_S2_S2_ll, .Lfunc_end0-_ZN8rajaperf4apps6edge3dILm256EEEvPdS2_S2_S2_S2_S2_S2_S2_S2_S2_S2_S2_S2_S2_S2_S2_S2_S2_S2_S2_S2_S2_S2_S2_S2_ll
                                        ; -- End function
	.set _ZN8rajaperf4apps6edge3dILm256EEEvPdS2_S2_S2_S2_S2_S2_S2_S2_S2_S2_S2_S2_S2_S2_S2_S2_S2_S2_S2_S2_S2_S2_S2_S2_ll.num_vgpr, 256
	.set _ZN8rajaperf4apps6edge3dILm256EEEvPdS2_S2_S2_S2_S2_S2_S2_S2_S2_S2_S2_S2_S2_S2_S2_S2_S2_S2_S2_S2_S2_S2_S2_S2_ll.num_agpr, 0
	.set _ZN8rajaperf4apps6edge3dILm256EEEvPdS2_S2_S2_S2_S2_S2_S2_S2_S2_S2_S2_S2_S2_S2_S2_S2_S2_S2_S2_S2_S2_S2_S2_S2_ll.numbered_sgpr, 68
	.set _ZN8rajaperf4apps6edge3dILm256EEEvPdS2_S2_S2_S2_S2_S2_S2_S2_S2_S2_S2_S2_S2_S2_S2_S2_S2_S2_S2_S2_S2_S2_S2_S2_ll.num_named_barrier, 0
	.set _ZN8rajaperf4apps6edge3dILm256EEEvPdS2_S2_S2_S2_S2_S2_S2_S2_S2_S2_S2_S2_S2_S2_S2_S2_S2_S2_S2_S2_S2_S2_S2_S2_ll.private_seg_size, 1840
	.set _ZN8rajaperf4apps6edge3dILm256EEEvPdS2_S2_S2_S2_S2_S2_S2_S2_S2_S2_S2_S2_S2_S2_S2_S2_S2_S2_S2_S2_S2_S2_S2_S2_ll.uses_vcc, 1
	.set _ZN8rajaperf4apps6edge3dILm256EEEvPdS2_S2_S2_S2_S2_S2_S2_S2_S2_S2_S2_S2_S2_S2_S2_S2_S2_S2_S2_S2_S2_S2_S2_S2_ll.uses_flat_scratch, 0
	.set _ZN8rajaperf4apps6edge3dILm256EEEvPdS2_S2_S2_S2_S2_S2_S2_S2_S2_S2_S2_S2_S2_S2_S2_S2_S2_S2_S2_S2_S2_S2_S2_S2_ll.has_dyn_sized_stack, 0
	.set _ZN8rajaperf4apps6edge3dILm256EEEvPdS2_S2_S2_S2_S2_S2_S2_S2_S2_S2_S2_S2_S2_S2_S2_S2_S2_S2_S2_S2_S2_S2_S2_S2_ll.has_recursion, 0
	.set _ZN8rajaperf4apps6edge3dILm256EEEvPdS2_S2_S2_S2_S2_S2_S2_S2_S2_S2_S2_S2_S2_S2_S2_S2_S2_S2_S2_S2_S2_S2_S2_S2_ll.has_indirect_call, 0
	.section	.AMDGPU.csdata,"",@progbits
; Kernel info:
; codeLenInByte = 19404
; TotalNumSgprs: 70
; NumVgprs: 256
; ScratchSize: 1840
; MemoryBound: 0
; FloatMode: 240
; IeeeMode: 1
; LDSByteSize: 0 bytes/workgroup (compile time only)
; SGPRBlocks: 0
; VGPRBlocks: 31
; NumSGPRsForWavesPerEU: 70
; NumVGPRsForWavesPerEU: 256
; Occupancy: 4
; WaveLimiterHint : 1
; COMPUTE_PGM_RSRC2:SCRATCH_EN: 1
; COMPUTE_PGM_RSRC2:USER_SGPR: 6
; COMPUTE_PGM_RSRC2:TRAP_HANDLER: 0
; COMPUTE_PGM_RSRC2:TGID_X_EN: 1
; COMPUTE_PGM_RSRC2:TGID_Y_EN: 0
; COMPUTE_PGM_RSRC2:TGID_Z_EN: 0
; COMPUTE_PGM_RSRC2:TIDIG_COMP_CNT: 0
	.section	.text._ZN8rajaperf17lambda_hip_forallILm256EZNS_4apps6EDGE3D17runHipVariantImplILm256EEEvNS_9VariantIDEEUllE_EEvllT0_,"axG",@progbits,_ZN8rajaperf17lambda_hip_forallILm256EZNS_4apps6EDGE3D17runHipVariantImplILm256EEEvNS_9VariantIDEEUllE_EEvllT0_,comdat
	.protected	_ZN8rajaperf17lambda_hip_forallILm256EZNS_4apps6EDGE3D17runHipVariantImplILm256EEEvNS_9VariantIDEEUllE_EEvllT0_ ; -- Begin function _ZN8rajaperf17lambda_hip_forallILm256EZNS_4apps6EDGE3D17runHipVariantImplILm256EEEvNS_9VariantIDEEUllE_EEvllT0_
	.globl	_ZN8rajaperf17lambda_hip_forallILm256EZNS_4apps6EDGE3D17runHipVariantImplILm256EEEvNS_9VariantIDEEUllE_EEvllT0_
	.p2align	8
	.type	_ZN8rajaperf17lambda_hip_forallILm256EZNS_4apps6EDGE3D17runHipVariantImplILm256EEEvNS_9VariantIDEEUllE_EEvllT0_,@function
_ZN8rajaperf17lambda_hip_forallILm256EZNS_4apps6EDGE3D17runHipVariantImplILm256EEEvNS_9VariantIDEEUllE_EEvllT0_: ; @_ZN8rajaperf17lambda_hip_forallILm256EZNS_4apps6EDGE3D17runHipVariantImplILm256EEEvNS_9VariantIDEEUllE_EEvllT0_
; %bb.0:
	s_load_dwordx4 s[8:11], s[4:5], 0x0
	s_add_u32 s0, s0, s7
	s_mov_b32 s7, 0
	s_addc_u32 s1, s1, 0
	s_lshl_b64 s[6:7], s[6:7], 8
	v_mov_b32_e32 v32, 0
	s_waitcnt lgkmcnt(0)
	s_add_u32 s6, s8, s6
	s_addc_u32 s7, s9, s7
	v_add_co_u32 v0, s6, s6, v0
	v_add_co_ci_u32_e64 v1, null, s7, 0, s6
	s_mov_b32 s6, exec_lo
	v_cmpx_gt_i64_e64 s[10:11], v[0:1]
	s_cbranch_execz .LBB1_11
; %bb.1:
	s_load_dwordx16 s[36:51], s[4:5], 0x10
	v_lshlrev_b64 v[48:49], 3, v[0:1]
	s_clause 0x1
	s_load_dwordx16 s[16:31], s[4:5], 0x50
	s_load_dwordx2 s[6:7], s[4:5], 0xd0
	v_mov_b32_e32 v96, 0
	v_mov_b32_e32 v84, 0
	;; [unrolled: 1-line block ×16, first 2 shown]
	s_waitcnt lgkmcnt(0)
	v_add_co_u32 v0, vcc_lo, s36, v48
	v_add_co_ci_u32_e64 v1, null, s37, v49, vcc_lo
	v_add_co_u32 v2, vcc_lo, s38, v48
	v_add_co_ci_u32_e64 v3, null, s39, v49, vcc_lo
	;; [unrolled: 2-line block ×6, first 2 shown]
	global_load_dwordx2 v[0:1], v[0:1], off
	global_load_dwordx2 v[2:3], v[2:3], off
	;; [unrolled: 1-line block ×6, first 2 shown]
	v_add_co_u32 v12, vcc_lo, s48, v48
	v_add_co_ci_u32_e64 v13, null, s49, v49, vcc_lo
	v_add_co_u32 v16, vcc_lo, s50, v48
	v_add_co_ci_u32_e64 v17, null, s51, v49, vcc_lo
	;; [unrolled: 2-line block ×5, first 2 shown]
	global_load_dwordx2 v[14:15], v[12:13], off
	global_load_dwordx2 v[18:19], v[16:17], off
	;; [unrolled: 1-line block ×5, first 2 shown]
	v_add_co_u32 v22, vcc_lo, s22, v48
	v_add_co_ci_u32_e64 v23, null, s23, v49, vcc_lo
	s_load_dwordx16 s[8:23], s[4:5], 0x90
	v_add_co_u32 v24, vcc_lo, s24, v48
	v_add_co_ci_u32_e64 v25, null, s25, v49, vcc_lo
	v_add_co_u32 v26, vcc_lo, s26, v48
	v_add_co_ci_u32_e64 v27, null, s27, v49, vcc_lo
	;; [unrolled: 2-line block ×4, first 2 shown]
	global_load_dwordx2 v[28:29], v[22:23], off
	global_load_dwordx2 v[24:25], v[24:25], off
	;; [unrolled: 1-line block ×5, first 2 shown]
	v_mov_b32_e32 v124, 0
	v_mov_b32_e32 v126, 0
	s_waitcnt lgkmcnt(0)
	v_add_co_u32 v33, vcc_lo, s8, v48
	v_add_co_ci_u32_e64 v34, null, s9, v49, vcc_lo
	v_add_co_u32 v35, vcc_lo, s10, v48
	v_add_co_ci_u32_e64 v36, null, s11, v49, vcc_lo
	;; [unrolled: 2-line block ×7, first 2 shown]
	v_add_co_u32 v47, vcc_lo, s22, v48
	buffer_store_dword v48, off, s[0:3], 0 offset:1824 ; 4-byte Folded Spill
	buffer_store_dword v49, off, s[0:3], 0 offset:1828 ; 4-byte Folded Spill
	v_mov_b32_e32 v128, 0
	v_mov_b32_e32 v130, 0
	;; [unrolled: 1-line block ×55, first 2 shown]
	s_mov_b32 s8, 0x74df99c7
	v_mov_b32_e32 v97, 0
	v_mov_b32_e32 v85, 0
	;; [unrolled: 1-line block ×73, first 2 shown]
	s_mov_b32 s9, 0x3fcb0cb1
	s_mov_b32 s10, 0x4ad4b81f
	;; [unrolled: 1-line block ×4, first 2 shown]
	s_mov_b32 s4, -1
	s_mov_b32 s11, 0x358dee7a
	s_mov_b32 s13, 0x3fe93cd3
	s_mov_b64 s[14:15], s[8:9]
	s_waitcnt vmcnt(13)
	v_add_f64 v[55:56], v[4:5], -v[2:3]
	s_waitcnt vmcnt(12)
	v_add_f64 v[53:54], v[4:5], -v[10:11]
	v_add_f64 v[51:52], v[10:11], -v[0:1]
	s_waitcnt vmcnt(10)
	v_add_f64 v[57:58], v[8:9], -v[6:7]
	s_waitcnt vmcnt(9)
	;; [unrolled: 2-line block ×3, first 2 shown]
	v_add_f64 v[59:60], v[18:19], -v[6:7]
	v_add_f64 v[61:62], v[14:15], -v[18:19]
	s_waitcnt vmcnt(6)
	v_add_f64 v[65:66], v[12:13], -v[16:17]
	s_waitcnt vmcnt(5)
	;; [unrolled: 2-line block ×6, first 2 shown]
	v_add_f64 v[78:79], v[30:31], -v[24:25]
	v_add_co_ci_u32_e64 v48, null, s23, v49, vcc_lo
	global_load_dwordx2 v[35:36], v[35:36], off
	global_load_dwordx2 v[43:44], v[43:44], off
	;; [unrolled: 1-line block ×8, first 2 shown]
	v_add_f64 v[49:50], v[6:7], -v[0:1]
	buffer_store_dword v32, off, s[0:3], 0
	buffer_store_dword v32, off, s[0:3], 0 offset:8
	buffer_store_dword v32, off, s[0:3], 0 offset:20
	;; [unrolled: 1-line block ×157, first 2 shown]
	v_mov_b32_e32 v32, 0x3fe00000
	buffer_store_dword v32, off, s[0:3], 0 offset:4
	buffer_store_dword v49, off, s[0:3], 0 offset:1728 ; 4-byte Folded Spill
	buffer_store_dword v50, off, s[0:3], 0 offset:1732 ; 4-byte Folded Spill
	v_add_f64 v[49:50], v[8:9], -v[2:3]
	buffer_store_dword v49, off, s[0:3], 0 offset:1736 ; 4-byte Folded Spill
	buffer_store_dword v50, off, s[0:3], 0 offset:1740 ; 4-byte Folded Spill
	v_add_f64 v[49:50], v[14:15], -v[4:5]
	;; [unrolled: 3-line block ×8, first 2 shown]
	v_add_f64 v[30:31], v[26:27], -v[30:31]
	v_mov_b32_e32 v26, 0
	v_mov_b32_e32 v2, 0
	;; [unrolled: 1-line block ×6, first 2 shown]
	v_add_f64 v[28:29], v[20:21], -v[28:29]
	s_waitcnt vmcnt(6)
	v_add_f64 v[0:1], v[43:44], -v[35:36]
	buffer_store_dword v0, off, s[0:3], 0 offset:1792 ; 4-byte Folded Spill
	buffer_store_dword v1, off, s[0:3], 0 offset:1796 ; 4-byte Folded Spill
	s_waitcnt vmcnt(3)
	v_add_f64 v[0:1], v[45:46], -v[37:38]
	buffer_store_dword v0, off, s[0:3], 0 offset:1800 ; 4-byte Folded Spill
	buffer_store_dword v1, off, s[0:3], 0 offset:1804 ; 4-byte Folded Spill
	;; [unrolled: 4-line block ×4, first 2 shown]
	v_add_f64 v[82:83], v[35:36], -v[33:34]
	v_add_f64 v[35:36], v[37:38], -v[35:36]
	v_add_f64 v[37:38], v[37:38], -v[39:40]
	v_add_f64 v[33:34], v[39:40], -v[33:34]
	v_add_f64 v[39:40], v[43:44], -v[41:42]
	v_add_f64 v[41:42], v[47:48], -v[41:42]
	v_add_f64 v[47:48], v[45:46], -v[47:48]
	v_add_f64 v[43:44], v[45:46], -v[43:44]
	v_mov_b32_e32 v45, 0
	v_mov_b32_e32 v0, 0
	;; [unrolled: 1-line block ×4, first 2 shown]
	buffer_store_dword v32, off, s[0:3], 0 offset:12
	buffer_store_dword v49, off, s[0:3], 0 offset:1536 ; 4-byte Folded Spill
	buffer_store_dword v50, off, s[0:3], 0 offset:1540 ; 4-byte Folded Spill
	buffer_store_dword v51, off, s[0:3], 0 offset:1544 ; 4-byte Folded Spill
	buffer_store_dword v52, off, s[0:3], 0 offset:1548 ; 4-byte Folded Spill
	buffer_store_dword v53, off, s[0:3], 0 offset:1552 ; 4-byte Folded Spill
	buffer_store_dword v54, off, s[0:3], 0 offset:1556 ; 4-byte Folded Spill
	buffer_store_dword v55, off, s[0:3], 0 offset:1560 ; 4-byte Folded Spill
	buffer_store_dword v56, off, s[0:3], 0 offset:1564 ; 4-byte Folded Spill
	buffer_store_dword v57, off, s[0:3], 0 offset:1568 ; 4-byte Folded Spill
	buffer_store_dword v58, off, s[0:3], 0 offset:1572 ; 4-byte Folded Spill
	buffer_store_dword v59, off, s[0:3], 0 offset:1576 ; 4-byte Folded Spill
	buffer_store_dword v60, off, s[0:3], 0 offset:1580 ; 4-byte Folded Spill
	buffer_store_dword v61, off, s[0:3], 0 offset:1584 ; 4-byte Folded Spill
	buffer_store_dword v62, off, s[0:3], 0 offset:1588 ; 4-byte Folded Spill
	buffer_store_dword v63, off, s[0:3], 0 offset:1592 ; 4-byte Folded Spill
	buffer_store_dword v64, off, s[0:3], 0 offset:1596 ; 4-byte Folded Spill
	buffer_store_dword v65, off, s[0:3], 0 offset:1600 ; 4-byte Folded Spill
	buffer_store_dword v66, off, s[0:3], 0 offset:1604 ; 4-byte Folded Spill
	buffer_store_dword v67, off, s[0:3], 0 offset:1608 ; 4-byte Folded Spill
	buffer_store_dword v68, off, s[0:3], 0 offset:1612 ; 4-byte Folded Spill
	buffer_store_dword v28, off, s[0:3], 0 offset:1616 ; 4-byte Folded Spill
	buffer_store_dword v29, off, s[0:3], 0 offset:1620 ; 4-byte Folded Spill
	buffer_store_dword v69, off, s[0:3], 0 offset:1624 ; 4-byte Folded Spill
	buffer_store_dword v70, off, s[0:3], 0 offset:1628 ; 4-byte Folded Spill
	buffer_store_dword v71, off, s[0:3], 0 offset:1632 ; 4-byte Folded Spill
	buffer_store_dword v72, off, s[0:3], 0 offset:1636 ; 4-byte Folded Spill
	buffer_store_dword v78, off, s[0:3], 0 offset:1640 ; 4-byte Folded Spill
	buffer_store_dword v79, off, s[0:3], 0 offset:1644 ; 4-byte Folded Spill
	buffer_store_dword v30, off, s[0:3], 0 offset:1648 ; 4-byte Folded Spill
	buffer_store_dword v31, off, s[0:3], 0 offset:1652 ; 4-byte Folded Spill
	buffer_store_dword v80, off, s[0:3], 0 offset:1656 ; 4-byte Folded Spill
	buffer_store_dword v81, off, s[0:3], 0 offset:1660 ; 4-byte Folded Spill
	buffer_store_dword v82, off, s[0:3], 0 offset:1664 ; 4-byte Folded Spill
	buffer_store_dword v83, off, s[0:3], 0 offset:1668 ; 4-byte Folded Spill
	buffer_store_dword v35, off, s[0:3], 0 offset:1672 ; 4-byte Folded Spill
	buffer_store_dword v36, off, s[0:3], 0 offset:1676 ; 4-byte Folded Spill
	buffer_store_dword v37, off, s[0:3], 0 offset:1680 ; 4-byte Folded Spill
	buffer_store_dword v38, off, s[0:3], 0 offset:1684 ; 4-byte Folded Spill
	buffer_store_dword v33, off, s[0:3], 0 offset:1688 ; 4-byte Folded Spill
	buffer_store_dword v34, off, s[0:3], 0 offset:1692 ; 4-byte Folded Spill
	buffer_store_dword v39, off, s[0:3], 0 offset:1696 ; 4-byte Folded Spill
	buffer_store_dword v40, off, s[0:3], 0 offset:1700 ; 4-byte Folded Spill
	buffer_store_dword v41, off, s[0:3], 0 offset:1704 ; 4-byte Folded Spill
	buffer_store_dword v42, off, s[0:3], 0 offset:1708 ; 4-byte Folded Spill
	buffer_store_dword v47, off, s[0:3], 0 offset:1712 ; 4-byte Folded Spill
	buffer_store_dword v48, off, s[0:3], 0 offset:1716 ; 4-byte Folded Spill
	buffer_store_dword v43, off, s[0:3], 0 offset:1720 ; 4-byte Folded Spill
	buffer_store_dword v44, off, s[0:3], 0 offset:1724 ; 4-byte Folded Spill
	s_branch .LBB1_3
.LBB1_2:                                ;   in Loop: Header=BB1_3 Depth=1
	s_mov_b32 s5, 8
	s_and_b32 vcc_lo, exec_lo, s20
	s_mov_b64 s[14:15], s[12:13]
	s_cbranch_vccnz .LBB1_8
.LBB1_3:                                ; =>This Loop Header: Depth=1
                                        ;     Child Loop BB1_4 Depth 2
                                        ;       Child Loop BB1_5 Depth 3
	v_add_f64 v[74:75], -s[14:15], 1.0
	s_xor_b32 s20, s4, -1
	s_mov_b32 s4, -1
	s_mov_b32 s18, 0
	s_mov_b64 s[16:17], s[8:9]
.LBB1_4:                                ;   Parent Loop BB1_3 Depth=1
                                        ; =>  This Loop Header: Depth=2
                                        ;       Child Loop BB1_5 Depth 3
	s_waitcnt vmcnt(5)
	buffer_store_dword v4, off, s[0:3], 0 offset:1184 ; 4-byte Folded Spill
	s_waitcnt vmcnt(4)
	buffer_store_dword v5, off, s[0:3], 0 offset:1188 ; 4-byte Folded Spill
	;; [unrolled: 2-line block ×6, first 2 shown]
	v_mov_b32_e32 v1, s5
	v_mov_b32_e32 v3, s18
	v_add_f64 v[76:77], -s[16:17], 1.0
	v_mul_f64 v[14:15], s[14:15], s[16:17]
	s_mov_b32 s23, -1
	s_clause 0x9
	buffer_load_dword v0, v1, s[0:3], 0 offen
	buffer_load_dword v1, v1, s[0:3], 0 offen offset:4
	buffer_load_dword v2, v3, s[0:3], 0 offen
	buffer_load_dword v3, v3, s[0:3], 0 offen offset:4
	buffer_load_dword v4, off, s[0:3], 0 offset:1736
	buffer_load_dword v5, off, s[0:3], 0 offset:1740
	;; [unrolled: 1-line block ×6, first 2 shown]
	s_xor_b32 s21, s4, -1
	s_mov_b32 s22, 0
	s_mov_b64 s[18:19], s[8:9]
	v_mul_f64 v[10:11], s[14:15], v[76:77]
	v_mul_f64 v[12:13], v[74:75], v[76:77]
	s_waitcnt vmcnt(6)
	v_mul_f64 v[0:1], v[0:1], v[2:3]
	s_waitcnt vmcnt(4)
	;; [unrolled: 2-line block ×3, first 2 shown]
	v_mul_f64 v[6:7], v[6:7], v[10:11]
	buffer_store_dword v10, off, s[0:3], 0 offset:1480 ; 4-byte Folded Spill
	buffer_store_dword v11, off, s[0:3], 0 offset:1484 ; 4-byte Folded Spill
	s_waitcnt vmcnt(0)
	v_mul_f64 v[8:9], v[8:9], v[10:11]
	s_clause 0x1
	buffer_load_dword v10, off, s[0:3], 0 offset:1728
	buffer_load_dword v11, off, s[0:3], 0 offset:1732
	s_waitcnt vmcnt(0)
	v_fma_f64 v[4:5], v[10:11], v[12:13], v[4:5]
	s_clause 0x1
	buffer_load_dword v10, off, s[0:3], 0 offset:1760
	buffer_load_dword v11, off, s[0:3], 0 offset:1764
	s_waitcnt vmcnt(0)
	v_fma_f64 v[6:7], v[10:11], v[12:13], v[6:7]
	;; [unrolled: 5-line block ×3, first 2 shown]
	s_clause 0x1
	buffer_load_dword v10, off, s[0:3], 0 offset:1744
	buffer_load_dword v11, off, s[0:3], 0 offset:1748
	v_mul_f64 v[12:13], v[74:75], s[16:17]
	s_waitcnt vmcnt(0)
	v_fma_f64 v[4:5], v[10:11], v[14:15], v[4:5]
	s_clause 0x1
	buffer_load_dword v10, off, s[0:3], 0 offset:1776
	buffer_load_dword v11, off, s[0:3], 0 offset:1780
	s_waitcnt vmcnt(0)
	v_fma_f64 v[6:7], v[10:11], v[14:15], v[6:7]
	s_clause 0x1
	buffer_load_dword v10, off, s[0:3], 0 offset:1800
	buffer_load_dword v11, off, s[0:3], 0 offset:1804
	buffer_store_dword v14, off, s[0:3], 0 offset:1488 ; 4-byte Folded Spill
	buffer_store_dword v15, off, s[0:3], 0 offset:1492 ; 4-byte Folded Spill
	s_waitcnt vmcnt(0)
	v_fma_f64 v[8:9], v[10:11], v[14:15], v[8:9]
	s_clause 0x1
	buffer_load_dword v10, off, s[0:3], 0 offset:1752
	buffer_load_dword v11, off, s[0:3], 0 offset:1756
	s_waitcnt vmcnt(0)
	v_fma_f64 v[4:5], v[10:11], v[12:13], v[4:5]
	buffer_store_dword v4, off, s[0:3], 0 offset:1504 ; 4-byte Folded Spill
	buffer_store_dword v5, off, s[0:3], 0 offset:1508 ; 4-byte Folded Spill
	s_clause 0x1
	buffer_load_dword v4, off, s[0:3], 0 offset:1784
	buffer_load_dword v5, off, s[0:3], 0 offset:1788
	s_waitcnt vmcnt(0)
	v_fma_f64 v[4:5], v[4:5], v[12:13], v[6:7]
	buffer_store_dword v4, off, s[0:3], 0 offset:1512 ; 4-byte Folded Spill
	buffer_store_dword v5, off, s[0:3], 0 offset:1516 ; 4-byte Folded Spill
	;; [unrolled: 1-line block ×4, first 2 shown]
	s_clause 0x1
	buffer_load_dword v0, off, s[0:3], 0 offset:1816
	buffer_load_dword v1, off, s[0:3], 0 offset:1820
	buffer_store_dword v12, off, s[0:3], 0 offset:1496 ; 4-byte Folded Spill
	buffer_store_dword v13, off, s[0:3], 0 offset:1500 ; 4-byte Folded Spill
	s_waitcnt vmcnt(0)
	v_fma_f64 v[0:1], v[0:1], v[12:13], v[8:9]
	buffer_store_dword v0, off, s[0:3], 0 offset:1528 ; 4-byte Folded Spill
	buffer_store_dword v1, off, s[0:3], 0 offset:1532 ; 4-byte Folded Spill
.LBB1_5:                                ;   Parent Loop BB1_3 Depth=1
                                        ;     Parent Loop BB1_4 Depth=2
                                        ; =>    This Inner Loop Header: Depth=3
	v_cndmask_b32_e64 v0, 0, 1, s23
	buffer_store_dword v248, off, s[0:3], 0 offset:1472 ; 4-byte Folded Spill
	buffer_store_dword v249, off, s[0:3], 0 offset:1476 ; 4-byte Folded Spill
	;; [unrolled: 1-line block ×72, first 2 shown]
	v_mul_f64 v[20:21], v[76:77], s[18:19]
	v_mul_f64 v[22:23], v[74:75], s[18:19]
	;; [unrolled: 1-line block ×3, first 2 shown]
	v_cmp_ne_u32_e64 s4, 1, v0
	v_mov_b32_e32 v0, s22
	v_mul_f64 v[16:17], s[14:15], s[18:19]
	s_mov_b32 s22, 8
	s_mov_b32 s23, 0
	s_clause 0x1
	buffer_load_dword v10, v0, s[0:3], 0 offen
	buffer_load_dword v11, v0, s[0:3], 0 offen offset:4
	v_add_f64 v[0:1], -s[18:19], 1.0
	v_mul_f64 v[12:13], v[74:75], v[0:1]
	v_mul_f64 v[24:25], s[16:17], v[0:1]
	;; [unrolled: 1-line block ×4, first 2 shown]
	s_waitcnt vmcnt(12)
	v_mul_f64 v[8:9], v[51:52], v[12:13]
	v_mul_f64 v[2:3], v[53:54], v[24:25]
	;; [unrolled: 1-line block ×4, first 2 shown]
	s_waitcnt vmcnt(2)
	v_mul_f64 v[28:29], v[67:68], v[12:13]
	v_fma_f64 v[8:9], v[55:56], v[26:27], v[8:9]
	v_fma_f64 v[2:3], v[49:50], v[14:15], v[2:3]
	;; [unrolled: 1-line block ×7, first 2 shown]
	s_clause 0x1
	buffer_load_dword v58, off, s[0:3], 0 offset:1504
	buffer_load_dword v59, off, s[0:3], 0 offset:1508
	v_fma_f64 v[4:5], v[71:72], v[20:21], v[4:5]
	v_fma_f64 v[6:7], v[39:40], v[20:21], v[6:7]
	;; [unrolled: 1-line block ×5, first 2 shown]
	s_clause 0x3
	buffer_load_dword v60, off, s[0:3], 0 offset:1512
	buffer_load_dword v61, off, s[0:3], 0 offset:1516
	;; [unrolled: 1-line block ×4, first 2 shown]
	v_fma_f64 v[4:5], v[30:31], v[18:19], v[4:5]
	v_mul_f64 v[30:31], v[33:34], v[12:13]
	v_fma_f64 v[6:7], v[47:48], v[18:19], v[6:7]
	v_fma_f64 v[28:29], v[80:81], v[16:17], v[28:29]
	v_mul_f64 v[38:39], v[8:9], v[4:5]
	v_fma_f64 v[30:31], v[35:36], v[26:27], v[30:31]
	v_mul_f64 v[34:35], v[28:29], v[6:7]
	;; [unrolled: 2-line block ×4, first 2 shown]
	s_waitcnt vmcnt(4)
	v_mul_f64 v[36:37], v[58:59], v[34:35]
	v_fma_f64 v[34:35], v[4:5], v[30:31], -v[34:35]
	v_mul_f64 v[48:49], v[58:59], v[28:29]
	v_fma_f64 v[32:33], v[58:59], v[32:33], -v[36:37]
	v_mul_f64 v[36:37], v[8:9], v[6:7]
	s_waitcnt vmcnt(2)
	v_mul_f64 v[50:51], v[60:61], v[2:3]
	v_fma_f64 v[48:49], v[60:61], v[8:9], -v[48:49]
	v_fma_f64 v[32:33], v[60:61], v[36:37], v[32:33]
	v_mul_f64 v[36:37], v[2:3], v[30:31]
	v_fma_f64 v[50:51], v[58:59], v[4:5], -v[50:51]
	v_fma_f64 v[32:33], -v[60:61], v[36:37], v[32:33]
	v_fma_f64 v[36:37], v[8:9], v[6:7], -v[36:37]
	s_waitcnt vmcnt(0)
	v_fma_f64 v[32:33], -v[62:63], v[38:39], v[32:33]
	v_fma_f64 v[38:39], v[2:3], v[28:29], -v[38:39]
	v_fma_f64 v[106:107], v[62:63], v[40:41], v[32:33]
	v_add_f64 v[32:33], v[106:107], s[10:11]
	v_div_scale_f64 v[40:41], null, v[32:33], v[32:33], 1.0
	v_rcp_f64_e32 v[42:43], v[40:41]
	v_fma_f64 v[44:45], -v[40:41], v[42:43], 1.0
	v_fma_f64 v[42:43], v[42:43], v[44:45], v[42:43]
	v_fma_f64 v[44:45], -v[40:41], v[42:43], 1.0
	v_fma_f64 v[42:43], v[42:43], v[44:45], v[42:43]
	v_div_scale_f64 v[44:45], vcc_lo, 1.0, v[32:33], 1.0
	v_mul_f64 v[46:47], v[44:45], v[42:43]
	v_fma_f64 v[40:41], -v[40:41], v[46:47], v[44:45]
	v_mul_f64 v[44:45], v[62:63], v[8:9]
	v_div_fmas_f64 v[40:41], v[40:41], v[42:43], v[46:47]
	v_mul_f64 v[42:43], v[62:63], v[4:5]
	v_mul_f64 v[46:47], v[58:59], v[6:7]
	v_fma_f64 v[44:45], v[58:59], v[30:31], -v[44:45]
	v_div_fixup_f64 v[32:33], v[40:41], v[32:33], 1.0
	v_mul_f64 v[40:41], v[60:61], v[30:31]
	v_fma_f64 v[42:43], v[60:61], v[6:7], -v[42:43]
	v_fma_f64 v[46:47], v[62:63], v[2:3], -v[46:47]
	v_mul_f64 v[34:35], v[34:35], v[32:33]
	v_fma_f64 v[40:41], v[62:63], v[28:29], -v[40:41]
	v_mul_f64 v[42:43], v[42:43], v[32:33]
	v_mul_f64 v[46:47], v[46:47], v[32:33]
	;; [unrolled: 1-line block ×9, first 2 shown]
	v_add_f64 v[38:39], |v[106:107]|, s[10:11]
	v_fma_f64 v[54:55], v[14:15], v[40:41], v[52:53]
	v_fma_f64 v[108:109], v[34:35], 0, v[54:55]
	v_mul_f64 v[54:55], v[46:47], 0
	v_fma_f64 v[56:57], v[14:15], v[44:45], v[54:55]
	v_fma_f64 v[128:129], v[36:37], 0, v[56:57]
	v_mul_f64 v[56:57], v[50:51], 0
	v_fma_f64 v[14:15], v[14:15], v[48:49], v[56:57]
	v_fma_f64 v[126:127], v[32:33], 0, v[14:15]
	;; [unrolled: 1-line block ×20, first 2 shown]
	v_mul_f64 v[14:15], v[40:41], 0
	v_fma_f64 v[18:19], v[12:13], v[42:43], v[14:15]
	v_fma_f64 v[246:247], v[34:35], 0, v[18:19]
	v_mul_f64 v[18:19], v[44:45], 0
	v_fma_f64 v[20:21], v[12:13], v[46:47], v[18:19]
	v_fma_f64 v[94:95], v[36:37], 0, v[20:21]
	;; [unrolled: 3-line block ×3, first 2 shown]
	v_fma_f64 v[12:13], v[26:27], v[42:43], v[14:15]
	v_fma_f64 v[180:181], v[34:35], 0, v[12:13]
	;; [unrolled: 1-line block ×11, first 2 shown]
	v_mul_f64 v[22:23], v[74:75], v[76:77]
	v_fma_f64 v[146:147], v[32:33], 0, v[12:13]
	v_fma_f64 v[12:13], v[16:17], v[42:43], v[14:15]
	;; [unrolled: 1-line block ×10, first 2 shown]
	s_clause 0x1
	buffer_load_dword v18, off, s[0:3], 0 offset:1480
	buffer_load_dword v19, off, s[0:3], 0 offset:1484
	v_fma_f64 v[92:93], v[22:23], v[32:33], v[16:17]
	v_fma_f64 v[88:89], v[22:23], v[34:35], v[12:13]
	;; [unrolled: 1-line block ×3, first 2 shown]
	s_waitcnt vmcnt(0)
	v_fma_f64 v[82:83], v[18:19], v[34:35], v[12:13]
	v_fma_f64 v[86:87], v[18:19], v[36:37], v[14:15]
	;; [unrolled: 1-line block ×3, first 2 shown]
	s_clause 0x1
	buffer_load_dword v18, off, s[0:3], 0 offset:1496
	buffer_load_dword v19, off, s[0:3], 0 offset:1500
	s_waitcnt vmcnt(0)
	v_fma_f64 v[90:91], v[18:19], v[34:35], v[12:13]
	v_fma_f64 v[78:79], v[18:19], v[36:37], v[14:15]
	;; [unrolled: 1-line block ×3, first 2 shown]
	s_clause 0x1
	buffer_load_dword v18, off, s[0:3], 0 offset:1488
	buffer_load_dword v19, off, s[0:3], 0 offset:1492
	s_waitcnt vmcnt(0)
	v_fma_f64 v[68:69], v[18:19], v[34:35], v[12:13]
	s_clause 0x1
	buffer_load_dword v12, off, s[0:3], 0 offset:1520
	buffer_load_dword v13, off, s[0:3], 0 offset:1524
	v_fma_f64 v[72:73], v[18:19], v[36:37], v[14:15]
	v_fma_f64 v[70:71], v[18:19], v[32:33], v[16:17]
	s_waitcnt vmcnt(0)
	v_mul_f64 v[252:253], v[12:13], v[10:11]
	v_div_scale_f64 v[10:11], null, v[38:39], v[38:39], 1.0
	v_mul_f64 v[252:253], v[252:253], |v[106:107]|
	v_rcp_f64_e32 v[12:13], v[10:11]
	v_mul_f64 v[106:107], v[128:129], v[128:129]
	v_fma_f64 v[106:107], v[108:109], v[108:109], v[106:107]
	v_fma_f64 v[14:15], -v[10:11], v[12:13], 1.0
	v_fma_f64 v[106:107], v[126:127], v[126:127], v[106:107]
	v_fma_f64 v[12:13], v[12:13], v[14:15], v[12:13]
	v_fma_f64 v[14:15], -v[10:11], v[12:13], 1.0
	v_fma_f64 v[12:13], v[12:13], v[14:15], v[12:13]
	v_div_scale_f64 v[14:15], vcc_lo, 1.0, v[38:39], 1.0
	v_mul_f64 v[16:17], v[14:15], v[12:13]
	v_fma_f64 v[10:11], -v[10:11], v[16:17], v[14:15]
	v_div_fmas_f64 v[10:11], v[10:11], v[12:13], v[16:17]
	s_and_b32 vcc_lo, exec_lo, s4
	v_div_fixup_f64 v[10:11], v[10:11], v[38:39], 1.0
	v_mul_f64 v[250:251], v[2:3], v[10:11]
	v_mul_f64 v[2:3], v[8:9], v[10:11]
	;; [unrolled: 1-line block ×10, first 2 shown]
	v_mul_f64 v[10:11], v[2:3], -v[76:77]
	v_mul_f64 v[144:145], v[2:3], -s[16:17]
	v_mul_f64 v[154:155], s[16:17], v[2:3]
	v_mul_f64 v[140:141], v[4:5], -v[76:77]
	v_mul_f64 v[148:149], v[4:5], -s[16:17]
	v_mul_f64 v[50:51], v[76:77], v[4:5]
	v_mul_f64 v[156:157], s[16:17], v[4:5]
	v_mul_f64 v[142:143], v[6:7], -v[76:77]
	v_mul_f64 v[150:151], v[6:7], -s[16:17]
	v_mul_f64 v[152:153], v[76:77], v[6:7]
	v_mul_f64 v[158:159], s[16:17], v[6:7]
	v_fma_f64 v[12:13], v[2:3], -v[76:77], v[8:9]
	v_fma_f64 v[18:19], v[76:77], v[2:3], v[8:9]
	v_fma_f64 v[58:59], v[0:1], v[254:255], v[12:13]
	v_mul_f64 v[12:13], v[130:131], 0
	v_fma_f64 v[42:43], s[18:19], v[254:255], v[18:19]
	v_fma_f64 v[14:15], v[4:5], -v[76:77], v[12:13]
	v_fma_f64 v[18:19], v[76:77], v[4:5], v[12:13]
	v_fma_f64 v[66:67], v[0:1], v[134:135], v[14:15]
	v_mul_f64 v[14:15], v[136:137], 0
	v_fma_f64 v[46:47], s[18:19], v[134:135], v[18:19]
	v_fma_f64 v[16:17], v[6:7], -v[76:77], v[14:15]
	v_fma_f64 v[18:19], v[76:77], v[6:7], v[14:15]
	v_fma_f64 v[62:63], v[0:1], v[138:139], v[16:17]
	v_fma_f64 v[16:17], v[2:3], -s[16:17], v[8:9]
	v_fma_f64 v[8:9], s[16:17], v[2:3], v[8:9]
	v_fma_f64 v[44:45], s[18:19], v[138:139], v[18:19]
	v_fma_f64 v[48:49], -v[254:255], v[0:1], v[16:17]
	v_fma_f64 v[16:17], v[4:5], -s[16:17], v[12:13]
	v_fma_f64 v[36:37], -v[254:255], s[18:19], v[8:9]
	v_fma_f64 v[8:9], s[16:17], v[4:5], v[12:13]
	v_mul_f64 v[4:5], v[4:5], 0
	v_fma_f64 v[54:55], -v[134:135], v[0:1], v[16:17]
	v_fma_f64 v[16:17], v[6:7], -s[16:17], v[14:15]
	v_fma_f64 v[40:41], -v[134:135], s[18:19], v[8:9]
	v_fma_f64 v[8:9], s[16:17], v[6:7], v[14:15]
	v_mul_f64 v[6:7], v[6:7], 0
	v_fma_f64 v[52:53], -v[138:139], v[0:1], v[16:17]
	v_mul_f64 v[16:17], v[76:77], v[2:3]
	v_mul_f64 v[2:3], v[2:3], 0
	v_fma_f64 v[38:39], -v[138:139], s[18:19], v[8:9]
	v_fma_f64 v[8:9], v[74:75], v[250:251], v[2:3]
	v_fma_f64 v[30:31], v[254:255], -v[0:1], v[8:9]
	v_fma_f64 v[8:9], v[74:75], v[130:131], v[4:5]
	v_fma_f64 v[34:35], v[134:135], -v[0:1], v[8:9]
	;; [unrolled: 2-line block ×3, first 2 shown]
	v_fma_f64 v[8:9], s[14:15], v[250:251], v[2:3]
	v_fma_f64 v[24:25], v[0:1], v[254:255], v[8:9]
	;; [unrolled: 1-line block ×6, first 2 shown]
	v_fma_f64 v[0:1], -v[250:251], v[74:75], v[2:3]
	v_fma_f64 v[18:19], v[254:255], -s[18:19], v[0:1]
	v_fma_f64 v[0:1], -v[130:131], v[74:75], v[4:5]
	v_fma_f64 v[22:23], v[134:135], -s[18:19], v[0:1]
	;; [unrolled: 2-line block ×3, first 2 shown]
	v_fma_f64 v[0:1], -v[250:251], s[14:15], v[2:3]
	v_fma_f64 v[56:57], s[18:19], v[254:255], v[0:1]
	v_fma_f64 v[0:1], -v[130:131], s[14:15], v[4:5]
	v_fma_f64 v[64:65], s[18:19], v[134:135], v[0:1]
	;; [unrolled: 2-line block ×3, first 2 shown]
	v_fma_f64 v[0:1], v[250:251], -v[74:75], v[16:17]
	s_mov_b64 s[18:19], s[12:13]
	v_fma_f64 v[14:15], v[254:255], 0, v[0:1]
	v_fma_f64 v[0:1], v[130:131], -v[74:75], v[50:51]
	v_fma_f64 v[50:51], v[134:135], 0, v[0:1]
	v_fma_f64 v[0:1], v[136:137], -v[74:75], v[152:153]
	v_fma_f64 v[16:17], v[138:139], 0, v[0:1]
	v_fma_f64 v[0:1], v[250:251], -s[14:15], v[10:11]
	v_fma_f64 v[8:9], v[254:255], 0, v[0:1]
	v_fma_f64 v[0:1], v[130:131], -s[14:15], v[140:141]
	v_fma_f64 v[12:13], v[134:135], 0, v[0:1]
	v_fma_f64 v[0:1], v[136:137], -s[14:15], v[142:143]
	v_fma_f64 v[10:11], v[138:139], 0, v[0:1]
	v_fma_f64 v[0:1], v[74:75], v[250:251], v[154:155]
	;; [unrolled: 1-line block ×13, first 2 shown]
	s_clause 0x1
	buffer_load_dword v130, off, s[0:3], 0 offset:1184
	buffer_load_dword v131, off, s[0:3], 0 offset:1188
	s_waitcnt vmcnt(0)
	v_fma_f64 v[106:107], v[252:253], v[106:107], v[130:131]
	v_mul_f64 v[130:131], v[128:129], v[124:125]
	buffer_store_dword v107, off, s[0:3], 0 offset:20
	buffer_store_dword v106, off, s[0:3], 0 offset:16
	v_fma_f64 v[130:131], v[108:109], v[112:113], v[130:131]
	v_fma_f64 v[130:131], v[126:127], v[122:123], v[130:131]
	v_fma_f64 v[244:245], v[252:253], v[130:131], v[244:245]
	v_mul_f64 v[130:131], v[128:129], v[118:119]
	buffer_store_dword v245, off, s[0:3], 0 offset:28
	buffer_store_dword v244, off, s[0:3], 0 offset:24
	buffer_store_dword v245, off, s[0:3], 0 offset:116
	buffer_store_dword v244, off, s[0:3], 0 offset:112
	v_fma_f64 v[130:131], v[108:109], v[114:115], v[130:131]
	v_fma_f64 v[130:131], v[126:127], v[116:117], v[130:131]
	v_fma_f64 v[242:243], v[252:253], v[130:131], v[242:243]
	v_mul_f64 v[130:131], v[128:129], v[104:105]
	buffer_store_dword v243, off, s[0:3], 0 offset:36
	buffer_store_dword v242, off, s[0:3], 0 offset:32
	;; [unrolled: 8-line block ×8, first 2 shown]
	buffer_store_dword v231, off, s[0:3], 0 offset:788
	buffer_store_dword v230, off, s[0:3], 0 offset:784
	v_fma_f64 v[130:131], v[108:109], v[82:83], v[130:131]
	v_fma_f64 v[130:131], v[126:127], v[84:85], v[130:131]
	;; [unrolled: 1-line block ×3, first 2 shown]
	v_mul_f64 v[130:131], v[128:129], v[78:79]
	v_mul_f64 v[128:129], v[128:129], v[72:73]
	buffer_store_dword v229, off, s[0:3], 0 offset:92
	buffer_store_dword v228, off, s[0:3], 0 offset:88
	;; [unrolled: 1-line block ×4, first 2 shown]
	v_fma_f64 v[130:131], v[108:109], v[90:91], v[130:131]
	v_fma_f64 v[108:109], v[108:109], v[68:69], v[128:129]
	;; [unrolled: 1-line block ×6, first 2 shown]
	buffer_store_dword v226, off, s[0:3], 0 offset:96
	buffer_store_dword v227, off, s[0:3], 0 offset:100
	;; [unrolled: 1-line block ×8, first 2 shown]
	s_clause 0x1
	buffer_load_dword v126, off, s[0:3], 0 offset:1176
	buffer_load_dword v127, off, s[0:3], 0 offset:1180
	v_mul_f64 v[108:109], v[124:125], v[124:125]
	v_fma_f64 v[108:109], v[112:113], v[112:113], v[108:109]
	v_fma_f64 v[108:109], v[122:123], v[122:123], v[108:109]
	s_waitcnt vmcnt(0)
	v_fma_f64 v[108:109], v[252:253], v[108:109], v[126:127]
	v_mul_f64 v[126:127], v[124:125], v[118:119]
	buffer_store_dword v108, off, s[0:3], 0 offset:120
	buffer_store_dword v109, off, s[0:3], 0 offset:124
	v_fma_f64 v[126:127], v[112:113], v[114:115], v[126:127]
	v_fma_f64 v[126:127], v[122:123], v[116:117], v[126:127]
	v_fma_f64 v[220:221], v[252:253], v[126:127], v[220:221]
	v_mul_f64 v[126:127], v[124:125], v[104:105]
	buffer_store_dword v220, off, s[0:3], 0 offset:128
	buffer_store_dword v221, off, s[0:3], 0 offset:132
	buffer_store_dword v220, off, s[0:3], 0 offset:216
	buffer_store_dword v221, off, s[0:3], 0 offset:220
	v_fma_f64 v[126:127], v[112:113], v[98:99], v[126:127]
	v_fma_f64 v[126:127], v[122:123], v[100:101], v[126:127]
	v_fma_f64 v[218:219], v[252:253], v[126:127], v[218:219]
	v_mul_f64 v[126:127], v[124:125], v[94:95]
	buffer_store_dword v219, off, s[0:3], 0 offset:140
	buffer_store_dword v218, off, s[0:3], 0 offset:136
	;; [unrolled: 8-line block ×7, first 2 shown]
	buffer_store_dword v209, off, s[0:3], 0 offset:796
	buffer_store_dword v208, off, s[0:3], 0 offset:792
	v_fma_f64 v[126:127], v[112:113], v[82:83], v[126:127]
	v_fma_f64 v[126:127], v[122:123], v[84:85], v[126:127]
	;; [unrolled: 1-line block ×3, first 2 shown]
	v_mul_f64 v[126:127], v[124:125], v[78:79]
	v_mul_f64 v[124:125], v[124:125], v[72:73]
	buffer_store_dword v207, off, s[0:3], 0 offset:188
	buffer_store_dword v206, off, s[0:3], 0 offset:184
	;; [unrolled: 1-line block ×4, first 2 shown]
	v_fma_f64 v[126:127], v[112:113], v[90:91], v[126:127]
	v_fma_f64 v[112:113], v[112:113], v[68:69], v[124:125]
	v_fma_f64 v[126:127], v[122:123], v[80:81], v[126:127]
	v_fma_f64 v[112:113], v[122:123], v[70:71], v[112:113]
	v_fma_f64 v[204:205], v[252:253], v[126:127], v[204:205]
	v_fma_f64 v[202:203], v[252:253], v[112:113], v[202:203]
	buffer_store_dword v205, off, s[0:3], 0 offset:196
	buffer_store_dword v204, off, s[0:3], 0 offset:192
	buffer_store_dword v205, off, s[0:3], 0 offset:988
	buffer_store_dword v204, off, s[0:3], 0 offset:984
	buffer_store_dword v203, off, s[0:3], 0 offset:204
	buffer_store_dword v202, off, s[0:3], 0 offset:200
	buffer_store_dword v203, off, s[0:3], 0 offset:1084
	buffer_store_dword v202, off, s[0:3], 0 offset:1080
	s_clause 0x1
	buffer_load_dword v122, off, s[0:3], 0 offset:1168
	buffer_load_dword v123, off, s[0:3], 0 offset:1172
	v_mul_f64 v[112:113], v[118:119], v[118:119]
	v_fma_f64 v[112:113], v[114:115], v[114:115], v[112:113]
	v_fma_f64 v[112:113], v[116:117], v[116:117], v[112:113]
	s_waitcnt vmcnt(0)
	v_fma_f64 v[112:113], v[252:253], v[112:113], v[122:123]
	v_mul_f64 v[122:123], v[118:119], v[104:105]
	buffer_store_dword v113, off, s[0:3], 0 offset:228
	buffer_store_dword v112, off, s[0:3], 0 offset:224
	v_fma_f64 v[122:123], v[114:115], v[98:99], v[122:123]
	v_fma_f64 v[122:123], v[116:117], v[100:101], v[122:123]
	v_fma_f64 v[198:199], v[252:253], v[122:123], v[198:199]
	v_mul_f64 v[122:123], v[118:119], v[94:95]
	buffer_store_dword v199, off, s[0:3], 0 offset:236
	buffer_store_dword v198, off, s[0:3], 0 offset:232
	buffer_store_dword v199, off, s[0:3], 0 offset:324
	buffer_store_dword v198, off, s[0:3], 0 offset:320
	v_fma_f64 v[122:123], v[114:115], v[246:247], v[122:123]
	v_fma_f64 v[122:123], v[116:117], v[248:249], v[122:123]
	v_fma_f64 v[196:197], v[252:253], v[122:123], v[196:197]
	v_mul_f64 v[122:123], v[118:119], v[222:223]
	buffer_store_dword v197, off, s[0:3], 0 offset:244
	buffer_store_dword v196, off, s[0:3], 0 offset:240
	;; [unrolled: 8-line block ×6, first 2 shown]
	buffer_store_dword v189, off, s[0:3], 0 offset:804
	buffer_store_dword v188, off, s[0:3], 0 offset:800
	v_fma_f64 v[122:123], v[114:115], v[82:83], v[122:123]
	v_fma_f64 v[122:123], v[116:117], v[84:85], v[122:123]
	;; [unrolled: 1-line block ×3, first 2 shown]
	v_mul_f64 v[122:123], v[118:119], v[78:79]
	v_mul_f64 v[118:119], v[118:119], v[72:73]
	buffer_store_dword v187, off, s[0:3], 0 offset:284
	buffer_store_dword v186, off, s[0:3], 0 offset:280
	;; [unrolled: 1-line block ×4, first 2 shown]
	v_fma_f64 v[122:123], v[114:115], v[90:91], v[122:123]
	v_fma_f64 v[114:115], v[114:115], v[68:69], v[118:119]
	;; [unrolled: 1-line block ×6, first 2 shown]
	buffer_store_dword v185, off, s[0:3], 0 offset:292
	buffer_store_dword v184, off, s[0:3], 0 offset:288
	;; [unrolled: 1-line block ×8, first 2 shown]
	s_clause 0x1
	buffer_load_dword v116, off, s[0:3], 0 offset:1472
	buffer_load_dword v117, off, s[0:3], 0 offset:1476
	v_mul_f64 v[114:115], v[104:105], v[104:105]
	v_fma_f64 v[114:115], v[98:99], v[98:99], v[114:115]
	v_fma_f64 v[114:115], v[100:101], v[100:101], v[114:115]
	s_waitcnt vmcnt(0)
	v_fma_f64 v[114:115], v[252:253], v[114:115], v[116:117]
	v_mul_f64 v[116:117], v[104:105], v[94:95]
	buffer_store_dword v115, off, s[0:3], 0 offset:332
	buffer_store_dword v114, off, s[0:3], 0 offset:328
	v_fma_f64 v[116:117], v[98:99], v[246:247], v[116:117]
	v_fma_f64 v[116:117], v[100:101], v[248:249], v[116:117]
	v_fma_f64 v[178:179], v[252:253], v[116:117], v[178:179]
	v_mul_f64 v[116:117], v[104:105], v[222:223]
	buffer_store_dword v179, off, s[0:3], 0 offset:340
	buffer_store_dword v178, off, s[0:3], 0 offset:336
	buffer_store_dword v179, off, s[0:3], 0 offset:428
	buffer_store_dword v178, off, s[0:3], 0 offset:424
	v_fma_f64 v[116:117], v[98:99], v[180:181], v[116:117]
	v_fma_f64 v[116:117], v[100:101], v[200:201], v[116:117]
	v_fma_f64 v[176:177], v[252:253], v[116:117], v[176:177]
	v_mul_f64 v[116:117], v[104:105], v[162:163]
	buffer_store_dword v177, off, s[0:3], 0 offset:348
	buffer_store_dword v176, off, s[0:3], 0 offset:344
	;; [unrolled: 8-line block ×5, first 2 shown]
	buffer_store_dword v171, off, s[0:3], 0 offset:812
	buffer_store_dword v170, off, s[0:3], 0 offset:808
	v_fma_f64 v[116:117], v[98:99], v[82:83], v[116:117]
	v_fma_f64 v[116:117], v[100:101], v[84:85], v[116:117]
	;; [unrolled: 1-line block ×3, first 2 shown]
	v_mul_f64 v[116:117], v[104:105], v[78:79]
	v_mul_f64 v[104:105], v[104:105], v[72:73]
	buffer_store_dword v169, off, s[0:3], 0 offset:380
	buffer_store_dword v168, off, s[0:3], 0 offset:376
	;; [unrolled: 1-line block ×4, first 2 shown]
	v_fma_f64 v[116:117], v[98:99], v[90:91], v[116:117]
	v_fma_f64 v[98:99], v[98:99], v[68:69], v[104:105]
	;; [unrolled: 1-line block ×4, first 2 shown]
	v_mul_f64 v[100:101], v[94:95], v[94:95]
	v_fma_f64 v[166:167], v[252:253], v[116:117], v[166:167]
	v_fma_f64 v[98:99], v[252:253], v[98:99], v[164:165]
	buffer_store_dword v167, off, s[0:3], 0 offset:388
	buffer_store_dword v166, off, s[0:3], 0 offset:384
	;; [unrolled: 1-line block ×8, first 2 shown]
	s_clause 0x1
	buffer_load_dword v104, off, s[0:3], 0 offset:1408
	buffer_load_dword v105, off, s[0:3], 0 offset:1412
	v_fma_f64 v[100:101], v[246:247], v[246:247], v[100:101]
	v_mul_f64 v[116:117], v[94:95], v[162:163]
	v_fma_f64 v[100:101], v[248:249], v[248:249], v[100:101]
	v_fma_f64 v[116:117], v[246:247], v[132:133], v[116:117]
	;; [unrolled: 1-line block ×3, first 2 shown]
	s_waitcnt vmcnt(0)
	v_fma_f64 v[100:101], v[252:253], v[100:101], v[104:105]
	v_mul_f64 v[104:105], v[94:95], v[222:223]
	buffer_store_dword v101, off, s[0:3], 0 offset:436
	buffer_store_dword v100, off, s[0:3], 0 offset:432
	v_fma_f64 v[104:105], v[246:247], v[180:181], v[104:105]
	v_fma_f64 v[104:105], v[248:249], v[200:201], v[104:105]
	;; [unrolled: 1-line block ×3, first 2 shown]
	buffer_store_dword v105, off, s[0:3], 0 offset:444
	buffer_store_dword v104, off, s[0:3], 0 offset:440
	;; [unrolled: 1-line block ×4, first 2 shown]
	s_clause 0x1
	buffer_load_dword v118, off, s[0:3], 0 offset:1392
	buffer_load_dword v119, off, s[0:3], 0 offset:1396
	s_waitcnt vmcnt(0)
	v_fma_f64 v[158:159], v[252:253], v[116:117], v[118:119]
	buffer_store_dword v159, off, s[0:3], 0 offset:452
	buffer_store_dword v158, off, s[0:3], 0 offset:448
	buffer_store_dword v159, off, s[0:3], 0 offset:628
	buffer_store_dword v158, off, s[0:3], 0 offset:624
	s_clause 0x1
	buffer_load_dword v118, off, s[0:3], 0 offset:1464
	buffer_load_dword v119, off, s[0:3], 0 offset:1468
	v_mul_f64 v[116:117], v[94:95], v[120:121]
	v_fma_f64 v[116:117], v[246:247], v[102:103], v[116:117]
	v_fma_f64 v[116:117], v[248:249], v[110:111], v[116:117]
	s_waitcnt vmcnt(0)
	v_fma_f64 v[156:157], v[252:253], v[116:117], v[118:119]
	buffer_store_dword v157, off, s[0:3], 0 offset:460
	buffer_store_dword v156, off, s[0:3], 0 offset:456
	buffer_store_dword v157, off, s[0:3], 0 offset:724
	buffer_store_dword v156, off, s[0:3], 0 offset:720
	s_clause 0x1
	buffer_load_dword v118, off, s[0:3], 0 offset:1456
	buffer_load_dword v119, off, s[0:3], 0 offset:1460
	v_mul_f64 v[116:117], v[94:95], v[96:97]
	v_fma_f64 v[116:117], v[246:247], v[88:89], v[116:117]
	v_fma_f64 v[116:117], v[248:249], v[92:93], v[116:117]
	;; [unrolled: 12-line block ×3, first 2 shown]
	s_waitcnt vmcnt(0)
	v_fma_f64 v[152:153], v[252:253], v[116:117], v[118:119]
	buffer_store_dword v153, off, s[0:3], 0 offset:476
	buffer_store_dword v152, off, s[0:3], 0 offset:472
	;; [unrolled: 1-line block ×4, first 2 shown]
	s_clause 0x1
	buffer_load_dword v118, off, s[0:3], 0 offset:1440
	buffer_load_dword v119, off, s[0:3], 0 offset:1444
	v_mul_f64 v[116:117], v[94:95], v[78:79]
	v_mul_f64 v[94:95], v[94:95], v[72:73]
	v_fma_f64 v[116:117], v[246:247], v[90:91], v[116:117]
	v_fma_f64 v[94:95], v[246:247], v[68:69], v[94:95]
	;; [unrolled: 1-line block ×4, first 2 shown]
	s_waitcnt vmcnt(0)
	v_fma_f64 v[150:151], v[252:253], v[116:117], v[118:119]
	buffer_store_dword v151, off, s[0:3], 0 offset:484
	buffer_store_dword v150, off, s[0:3], 0 offset:480
	;; [unrolled: 1-line block ×4, first 2 shown]
	s_clause 0x1
	buffer_load_dword v116, off, s[0:3], 0 offset:1432
	buffer_load_dword v117, off, s[0:3], 0 offset:1436
	s_waitcnt vmcnt(0)
	v_fma_f64 v[94:95], v[252:253], v[94:95], v[116:117]
	buffer_store_dword v95, off, s[0:3], 0 offset:492
	buffer_store_dword v94, off, s[0:3], 0 offset:488
	;; [unrolled: 1-line block ×4, first 2 shown]
	s_clause 0x1
	buffer_load_dword v118, off, s[0:3], 0 offset:1424
	buffer_load_dword v119, off, s[0:3], 0 offset:1428
	v_mul_f64 v[116:117], v[222:223], v[222:223]
	v_fma_f64 v[116:117], v[180:181], v[180:181], v[116:117]
	v_fma_f64 v[116:117], v[200:201], v[200:201], v[116:117]
	s_waitcnt vmcnt(0)
	v_fma_f64 v[246:247], v[252:253], v[116:117], v[118:119]
	buffer_store_dword v247, off, s[0:3], 0 offset:540
	buffer_store_dword v246, off, s[0:3], 0 offset:536
	s_clause 0x1
	buffer_load_dword v118, off, s[0:3], 0 offset:1416
	buffer_load_dword v119, off, s[0:3], 0 offset:1420
	v_mul_f64 v[116:117], v[222:223], v[162:163]
	v_fma_f64 v[116:117], v[180:181], v[132:133], v[116:117]
	v_fma_f64 v[116:117], v[200:201], v[146:147], v[116:117]
	s_waitcnt vmcnt(0)
	v_fma_f64 v[144:145], v[252:253], v[116:117], v[118:119]
	buffer_store_dword v145, off, s[0:3], 0 offset:548
	buffer_store_dword v144, off, s[0:3], 0 offset:544
	buffer_store_dword v145, off, s[0:3], 0 offset:636
	buffer_store_dword v144, off, s[0:3], 0 offset:632
	s_clause 0x1
	buffer_load_dword v118, off, s[0:3], 0 offset:1400
	buffer_load_dword v119, off, s[0:3], 0 offset:1404
	v_mul_f64 v[116:117], v[222:223], v[120:121]
	v_fma_f64 v[116:117], v[180:181], v[102:103], v[116:117]
	v_fma_f64 v[116:117], v[200:201], v[110:111], v[116:117]
	s_waitcnt vmcnt(0)
	v_fma_f64 v[142:143], v[252:253], v[116:117], v[118:119]
	buffer_store_dword v143, off, s[0:3], 0 offset:556
	buffer_store_dword v142, off, s[0:3], 0 offset:552
	;; [unrolled: 12-line block ×7, first 2 shown]
	s_clause 0x1
	buffer_load_dword v118, off, s[0:3], 0 offset:1360
	buffer_load_dword v119, off, s[0:3], 0 offset:1364
	v_mul_f64 v[116:117], v[162:163], v[120:121]
	v_fma_f64 v[116:117], v[132:133], v[102:103], v[116:117]
	v_fma_f64 v[116:117], v[146:147], v[110:111], v[116:117]
	s_waitcnt vmcnt(0)
	v_fma_f64 v[130:131], v[252:253], v[116:117], v[118:119]
	buffer_store_dword v131, off, s[0:3], 0 offset:652
	buffer_store_dword v130, off, s[0:3], 0 offset:648
	buffer_store_dword v131, off, s[0:3], 0 offset:740
	buffer_store_dword v130, off, s[0:3], 0 offset:736
	s_clause 0x1
	buffer_load_dword v118, off, s[0:3], 0 offset:1352
	buffer_load_dword v119, off, s[0:3], 0 offset:1356
	v_mul_f64 v[116:117], v[162:163], v[96:97]
	v_fma_f64 v[116:117], v[132:133], v[88:89], v[116:117]
	v_fma_f64 v[116:117], v[146:147], v[92:93], v[116:117]
	s_waitcnt vmcnt(0)
	v_fma_f64 v[128:129], v[252:253], v[116:117], v[118:119]
	buffer_store_dword v129, off, s[0:3], 0 offset:660
	buffer_store_dword v128, off, s[0:3], 0 offset:656
	buffer_store_dword v129, off, s[0:3], 0 offset:836
	buffer_store_dword v128, off, s[0:3], 0 offset:832
	;; [unrolled: 12-line block ×5, first 2 shown]
	s_clause 0x1
	buffer_load_dword v118, off, s[0:3], 0 offset:1312
	buffer_load_dword v119, off, s[0:3], 0 offset:1316
	v_mul_f64 v[116:117], v[120:121], v[120:121]
	v_fma_f64 v[116:117], v[102:103], v[102:103], v[116:117]
	v_fma_f64 v[116:117], v[110:111], v[110:111], v[116:117]
	s_waitcnt vmcnt(0)
	v_fma_f64 v[132:133], v[252:253], v[116:117], v[118:119]
	buffer_store_dword v133, off, s[0:3], 0 offset:748
	buffer_store_dword v132, off, s[0:3], 0 offset:744
	s_clause 0x1
	buffer_load_dword v118, off, s[0:3], 0 offset:1304
	buffer_load_dword v119, off, s[0:3], 0 offset:1308
	v_mul_f64 v[116:117], v[120:121], v[96:97]
	v_fma_f64 v[116:117], v[102:103], v[88:89], v[116:117]
	v_fma_f64 v[116:117], v[110:111], v[92:93], v[116:117]
	s_waitcnt vmcnt(0)
	v_fma_f64 v[118:119], v[252:253], v[116:117], v[118:119]
	buffer_store_dword v119, off, s[0:3], 0 offset:756
	buffer_store_dword v118, off, s[0:3], 0 offset:752
	;; [unrolled: 1-line block ×4, first 2 shown]
	s_clause 0x1
	buffer_load_dword v146, off, s[0:3], 0 offset:1296
	buffer_load_dword v147, off, s[0:3], 0 offset:1300
	v_mul_f64 v[116:117], v[120:121], v[86:87]
	v_fma_f64 v[116:117], v[102:103], v[82:83], v[116:117]
	v_fma_f64 v[116:117], v[110:111], v[84:85], v[116:117]
	s_waitcnt vmcnt(0)
	v_fma_f64 v[116:117], v[252:253], v[116:117], v[146:147]
	buffer_store_dword v117, off, s[0:3], 0 offset:764
	buffer_store_dword v116, off, s[0:3], 0 offset:760
	;; [unrolled: 1-line block ×4, first 2 shown]
	s_clause 0x1
	buffer_load_dword v148, off, s[0:3], 0 offset:1248
	buffer_load_dword v149, off, s[0:3], 0 offset:1252
	v_mul_f64 v[146:147], v[120:121], v[78:79]
	v_mul_f64 v[120:121], v[120:121], v[72:73]
	v_fma_f64 v[146:147], v[102:103], v[90:91], v[146:147]
	v_fma_f64 v[102:103], v[102:103], v[68:69], v[120:121]
	;; [unrolled: 1-line block ×4, first 2 shown]
	s_waitcnt vmcnt(0)
	v_fma_f64 v[146:147], v[252:253], v[146:147], v[148:149]
	buffer_store_dword v147, off, s[0:3], 0 offset:772
	buffer_store_dword v146, off, s[0:3], 0 offset:768
	;; [unrolled: 1-line block ×4, first 2 shown]
	s_clause 0x1
	buffer_load_dword v110, off, s[0:3], 0 offset:1280
	buffer_load_dword v111, off, s[0:3], 0 offset:1284
	s_waitcnt vmcnt(0)
	v_fma_f64 v[102:103], v[252:253], v[102:103], v[110:111]
	buffer_store_dword v103, off, s[0:3], 0 offset:780
	buffer_store_dword v102, off, s[0:3], 0 offset:776
	buffer_store_dword v103, off, s[0:3], 0 offset:1132
	buffer_store_dword v102, off, s[0:3], 0 offset:1128
	s_clause 0x1
	buffer_load_dword v120, off, s[0:3], 0 offset:1272
	buffer_load_dword v121, off, s[0:3], 0 offset:1276
	v_mul_f64 v[110:111], v[96:97], v[96:97]
	v_fma_f64 v[110:111], v[88:89], v[88:89], v[110:111]
	v_fma_f64 v[110:111], v[92:93], v[92:93], v[110:111]
	s_waitcnt vmcnt(0)
	v_fma_f64 v[110:111], v[252:253], v[110:111], v[120:121]
	buffer_store_dword v111, off, s[0:3], 0 offset:852
	buffer_store_dword v110, off, s[0:3], 0 offset:848
	s_clause 0x1
	buffer_load_dword v148, off, s[0:3], 0 offset:1264
	buffer_load_dword v149, off, s[0:3], 0 offset:1268
	v_mul_f64 v[120:121], v[96:97], v[86:87]
	v_fma_f64 v[120:121], v[88:89], v[82:83], v[120:121]
	v_fma_f64 v[120:121], v[92:93], v[84:85], v[120:121]
	s_waitcnt vmcnt(0)
	v_fma_f64 v[120:121], v[252:253], v[120:121], v[148:149]
	buffer_store_dword v121, off, s[0:3], 0 offset:860
	buffer_store_dword v120, off, s[0:3], 0 offset:856
	;; [unrolled: 1-line block ×4, first 2 shown]
	s_clause 0x1
	buffer_load_dword v160, off, s[0:3], 0 offset:1256
	buffer_load_dword v161, off, s[0:3], 0 offset:1260
	v_mul_f64 v[148:149], v[96:97], v[78:79]
	v_mul_f64 v[96:97], v[96:97], v[72:73]
	v_fma_f64 v[148:149], v[88:89], v[90:91], v[148:149]
	v_fma_f64 v[88:89], v[88:89], v[68:69], v[96:97]
	;; [unrolled: 1-line block ×4, first 2 shown]
	s_waitcnt vmcnt(0)
	v_fma_f64 v[162:163], v[252:253], v[148:149], v[160:161]
	buffer_store_dword v163, off, s[0:3], 0 offset:868
	buffer_store_dword v162, off, s[0:3], 0 offset:864
	;; [unrolled: 1-line block ×4, first 2 shown]
	s_clause 0x1
	buffer_load_dword v92, off, s[0:3], 0 offset:1232
	buffer_load_dword v93, off, s[0:3], 0 offset:1236
	s_waitcnt vmcnt(0)
	v_fma_f64 v[88:89], v[252:253], v[88:89], v[92:93]
	buffer_store_dword v89, off, s[0:3], 0 offset:876
	buffer_store_dword v88, off, s[0:3], 0 offset:872
	;; [unrolled: 1-line block ×4, first 2 shown]
	s_clause 0x1
	buffer_load_dword v96, off, s[0:3], 0 offset:1240
	buffer_load_dword v97, off, s[0:3], 0 offset:1244
	v_mul_f64 v[92:93], v[86:87], v[86:87]
	v_fma_f64 v[92:93], v[82:83], v[82:83], v[92:93]
	v_fma_f64 v[92:93], v[84:85], v[84:85], v[92:93]
	s_waitcnt vmcnt(0)
	v_fma_f64 v[92:93], v[252:253], v[92:93], v[96:97]
	buffer_store_dword v93, off, s[0:3], 0 offset:956
	buffer_store_dword v92, off, s[0:3], 0 offset:952
	s_clause 0x1
	buffer_load_dword v148, off, s[0:3], 0 offset:1224
	buffer_load_dword v149, off, s[0:3], 0 offset:1228
	v_mul_f64 v[96:97], v[86:87], v[78:79]
	v_mul_f64 v[86:87], v[86:87], v[72:73]
	v_fma_f64 v[96:97], v[82:83], v[90:91], v[96:97]
	v_fma_f64 v[82:83], v[82:83], v[68:69], v[86:87]
	;; [unrolled: 1-line block ×4, first 2 shown]
	s_waitcnt vmcnt(0)
	v_fma_f64 v[96:97], v[252:253], v[96:97], v[148:149]
	buffer_store_dword v97, off, s[0:3], 0 offset:964
	buffer_store_dword v96, off, s[0:3], 0 offset:960
	buffer_store_dword v97, off, s[0:3], 0 offset:1052
	buffer_store_dword v96, off, s[0:3], 0 offset:1048
	s_clause 0x1
	buffer_load_dword v84, off, s[0:3], 0 offset:1216
	buffer_load_dword v85, off, s[0:3], 0 offset:1220
	s_waitcnt vmcnt(0)
	v_fma_f64 v[82:83], v[252:253], v[82:83], v[84:85]
	buffer_store_dword v83, off, s[0:3], 0 offset:972
	buffer_store_dword v82, off, s[0:3], 0 offset:968
	;; [unrolled: 1-line block ×4, first 2 shown]
	s_clause 0x1
	buffer_load_dword v86, off, s[0:3], 0 offset:1208
	buffer_load_dword v87, off, s[0:3], 0 offset:1212
	v_mul_f64 v[84:85], v[78:79], v[78:79]
	v_mul_f64 v[78:79], v[78:79], v[72:73]
	;; [unrolled: 1-line block ×3, first 2 shown]
	v_fma_f64 v[84:85], v[90:91], v[90:91], v[84:85]
	v_fma_f64 v[78:79], v[90:91], v[68:69], v[78:79]
	;; [unrolled: 1-line block ×6, first 2 shown]
	s_waitcnt vmcnt(0)
	v_fma_f64 v[84:85], v[252:253], v[84:85], v[86:87]
	buffer_store_dword v85, off, s[0:3], 0 offset:1060
	buffer_store_dword v84, off, s[0:3], 0 offset:1056
	s_clause 0x3
	buffer_load_dword v80, off, s[0:3], 0 offset:1656
	buffer_load_dword v81, off, s[0:3], 0 offset:1660
	;; [unrolled: 1-line block ×4, first 2 shown]
	s_waitcnt vmcnt(0)
	v_fma_f64 v[78:79], v[252:253], v[78:79], v[86:87]
	buffer_store_dword v79, off, s[0:3], 0 offset:1068
	buffer_store_dword v78, off, s[0:3], 0 offset:1064
	;; [unrolled: 1-line block ×4, first 2 shown]
	s_clause 0x1
	buffer_load_dword v70, off, s[0:3], 0 offset:1192
	buffer_load_dword v71, off, s[0:3], 0 offset:1196
	s_waitcnt vmcnt(0)
	v_fma_f64 v[68:69], v[252:253], v[68:69], v[70:71]
	v_mul_f64 v[70:71], v[66:67], v[66:67]
	buffer_store_dword v69, off, s[0:3], 0 offset:1164
	buffer_store_dword v68, off, s[0:3], 0 offset:1160
	v_fma_f64 v[70:71], v[58:59], v[58:59], v[70:71]
	v_fma_f64 v[70:71], v[62:63], v[62:63], v[70:71]
	;; [unrolled: 1-line block ×3, first 2 shown]
	buffer_store_dword v71, off, s[0:3], 0 offset:20
	buffer_store_dword v70, off, s[0:3], 0 offset:1184 ; 4-byte Folded Spill
	buffer_store_dword v71, off, s[0:3], 0 offset:1188 ; 4-byte Folded Spill
	buffer_store_dword v70, off, s[0:3], 0 offset:16
	v_mul_f64 v[70:71], v[66:67], v[54:55]
	v_fma_f64 v[70:71], v[58:59], v[48:49], v[70:71]
	v_fma_f64 v[70:71], v[62:63], v[52:53], v[70:71]
	v_fma_f64 v[244:245], v[252:253], v[70:71], v[244:245]
	v_mul_f64 v[70:71], v[66:67], v[46:47]
	buffer_store_dword v245, off, s[0:3], 0 offset:28
	buffer_store_dword v244, off, s[0:3], 0 offset:24
	buffer_store_dword v245, off, s[0:3], 0 offset:116
	buffer_store_dword v244, off, s[0:3], 0 offset:112
	v_fma_f64 v[70:71], v[58:59], v[42:43], v[70:71]
	v_fma_f64 v[70:71], v[62:63], v[44:45], v[70:71]
	v_fma_f64 v[242:243], v[252:253], v[70:71], v[242:243]
	v_mul_f64 v[70:71], v[66:67], v[40:41]
	buffer_store_dword v243, off, s[0:3], 0 offset:36
	buffer_store_dword v242, off, s[0:3], 0 offset:32
	buffer_store_dword v243, off, s[0:3], 0 offset:212
	buffer_store_dword v242, off, s[0:3], 0 offset:208
	;; [unrolled: 8-line block ×8, first 2 shown]
	v_fma_f64 v[70:71], v[58:59], v[8:9], v[70:71]
	v_fma_f64 v[70:71], v[62:63], v[10:11], v[70:71]
	;; [unrolled: 1-line block ×3, first 2 shown]
	v_mul_f64 v[70:71], v[66:67], v[6:7]
	v_mul_f64 v[66:67], v[66:67], v[0:1]
	buffer_store_dword v229, off, s[0:3], 0 offset:92
	buffer_store_dword v228, off, s[0:3], 0 offset:88
	;; [unrolled: 1-line block ×4, first 2 shown]
	v_fma_f64 v[70:71], v[58:59], v[2:3], v[70:71]
	v_fma_f64 v[58:59], v[58:59], v[254:255], v[66:67]
	;; [unrolled: 1-line block ×6, first 2 shown]
	v_mul_f64 v[58:59], v[54:55], v[54:55]
	s_clause 0x1
	buffer_load_dword v71, off, s[0:3], 0 offset:1632
	buffer_load_dword v72, off, s[0:3], 0 offset:1636
	buffer_store_dword v227, off, s[0:3], 0 offset:100
	buffer_store_dword v226, off, s[0:3], 0 offset:96
	;; [unrolled: 1-line block ×8, first 2 shown]
	v_fma_f64 v[58:59], v[48:49], v[48:49], v[58:59]
	v_fma_f64 v[58:59], v[52:53], v[52:53], v[58:59]
	;; [unrolled: 1-line block ×3, first 2 shown]
	buffer_store_dword v59, off, s[0:3], 0 offset:124
	buffer_store_dword v58, off, s[0:3], 0 offset:1176 ; 4-byte Folded Spill
	buffer_store_dword v59, off, s[0:3], 0 offset:1180 ; 4-byte Folded Spill
	buffer_store_dword v58, off, s[0:3], 0 offset:120
	v_mul_f64 v[58:59], v[54:55], v[46:47]
	v_fma_f64 v[58:59], v[48:49], v[42:43], v[58:59]
	v_fma_f64 v[58:59], v[52:53], v[44:45], v[58:59]
	v_fma_f64 v[220:221], v[252:253], v[58:59], v[220:221]
	v_mul_f64 v[58:59], v[54:55], v[40:41]
	buffer_store_dword v221, off, s[0:3], 0 offset:132
	buffer_store_dword v220, off, s[0:3], 0 offset:128
	buffer_store_dword v221, off, s[0:3], 0 offset:220
	buffer_store_dword v220, off, s[0:3], 0 offset:216
	v_fma_f64 v[58:59], v[48:49], v[36:37], v[58:59]
	v_fma_f64 v[58:59], v[52:53], v[38:39], v[58:59]
	v_fma_f64 v[218:219], v[252:253], v[58:59], v[218:219]
	v_mul_f64 v[58:59], v[54:55], v[34:35]
	buffer_store_dword v219, off, s[0:3], 0 offset:140
	buffer_store_dword v218, off, s[0:3], 0 offset:136
	buffer_store_dword v219, off, s[0:3], 0 offset:316
	buffer_store_dword v218, off, s[0:3], 0 offset:312
	;; [unrolled: 8-line block ×7, first 2 shown]
	v_fma_f64 v[58:59], v[48:49], v[8:9], v[58:59]
	v_fma_f64 v[58:59], v[52:53], v[10:11], v[58:59]
	;; [unrolled: 1-line block ×3, first 2 shown]
	v_mul_f64 v[58:59], v[54:55], v[6:7]
	v_mul_f64 v[54:55], v[54:55], v[0:1]
	buffer_store_dword v207, off, s[0:3], 0 offset:188
	buffer_store_dword v206, off, s[0:3], 0 offset:184
	;; [unrolled: 1-line block ×4, first 2 shown]
	v_fma_f64 v[58:59], v[48:49], v[2:3], v[58:59]
	v_fma_f64 v[48:49], v[48:49], v[254:255], v[54:55]
	;; [unrolled: 1-line block ×6, first 2 shown]
	v_mul_f64 v[48:49], v[46:47], v[46:47]
	buffer_store_dword v205, off, s[0:3], 0 offset:196
	buffer_store_dword v204, off, s[0:3], 0 offset:192
	;; [unrolled: 1-line block ×4, first 2 shown]
	s_clause 0x1
	buffer_load_dword v53, off, s[0:3], 0 offset:1552
	buffer_load_dword v54, off, s[0:3], 0 offset:1556
	v_fma_f64 v[48:49], v[42:43], v[42:43], v[48:49]
	buffer_store_dword v203, off, s[0:3], 0 offset:204
	buffer_store_dword v202, off, s[0:3], 0 offset:200
	;; [unrolled: 1-line block ×4, first 2 shown]
	v_fma_f64 v[48:49], v[44:45], v[44:45], v[48:49]
	v_fma_f64 v[48:49], v[252:253], v[48:49], v[112:113]
	buffer_store_dword v49, off, s[0:3], 0 offset:228
	buffer_store_dword v48, off, s[0:3], 0 offset:1168 ; 4-byte Folded Spill
	buffer_store_dword v49, off, s[0:3], 0 offset:1172 ; 4-byte Folded Spill
	buffer_store_dword v48, off, s[0:3], 0 offset:224
	v_mul_f64 v[48:49], v[46:47], v[40:41]
	v_fma_f64 v[48:49], v[42:43], v[36:37], v[48:49]
	v_fma_f64 v[48:49], v[44:45], v[38:39], v[48:49]
	v_fma_f64 v[198:199], v[252:253], v[48:49], v[198:199]
	v_mul_f64 v[48:49], v[46:47], v[34:35]
	buffer_store_dword v199, off, s[0:3], 0 offset:236
	buffer_store_dword v198, off, s[0:3], 0 offset:232
	buffer_store_dword v199, off, s[0:3], 0 offset:324
	buffer_store_dword v198, off, s[0:3], 0 offset:320
	v_fma_f64 v[48:49], v[42:43], v[30:31], v[48:49]
	v_fma_f64 v[48:49], v[44:45], v[32:33], v[48:49]
	v_fma_f64 v[196:197], v[252:253], v[48:49], v[196:197]
	v_mul_f64 v[48:49], v[46:47], v[28:29]
	buffer_store_dword v197, off, s[0:3], 0 offset:244
	buffer_store_dword v196, off, s[0:3], 0 offset:240
	buffer_store_dword v197, off, s[0:3], 0 offset:420
	buffer_store_dword v196, off, s[0:3], 0 offset:416
	;; [unrolled: 8-line block ×6, first 2 shown]
	v_fma_f64 v[48:49], v[42:43], v[8:9], v[48:49]
	v_fma_f64 v[48:49], v[44:45], v[10:11], v[48:49]
	;; [unrolled: 1-line block ×3, first 2 shown]
	v_mul_f64 v[48:49], v[46:47], v[6:7]
	v_mul_f64 v[46:47], v[46:47], v[0:1]
	buffer_store_dword v187, off, s[0:3], 0 offset:284
	buffer_store_dword v186, off, s[0:3], 0 offset:280
	;; [unrolled: 1-line block ×4, first 2 shown]
	v_fma_f64 v[48:49], v[42:43], v[2:3], v[48:49]
	v_fma_f64 v[42:43], v[42:43], v[254:255], v[46:47]
	;; [unrolled: 1-line block ×6, first 2 shown]
	v_mul_f64 v[42:43], v[40:41], v[40:41]
	buffer_store_dword v185, off, s[0:3], 0 offset:292
	buffer_store_dword v184, off, s[0:3], 0 offset:288
	;; [unrolled: 1-line block ×4, first 2 shown]
	s_clause 0x1
	buffer_load_dword v47, off, s[0:3], 0 offset:1712
	buffer_load_dword v48, off, s[0:3], 0 offset:1716
	v_fma_f64 v[42:43], v[36:37], v[36:37], v[42:43]
	buffer_store_dword v183, off, s[0:3], 0 offset:300
	buffer_store_dword v182, off, s[0:3], 0 offset:296
	buffer_store_dword v183, off, s[0:3], 0 offset:1092
	buffer_store_dword v182, off, s[0:3], 0 offset:1088
	v_fma_f64 v[42:43], v[38:39], v[38:39], v[42:43]
	v_fma_f64 v[248:249], v[252:253], v[42:43], v[114:115]
	v_mul_f64 v[42:43], v[40:41], v[34:35]
	buffer_store_dword v249, off, s[0:3], 0 offset:332
	buffer_store_dword v248, off, s[0:3], 0 offset:328
	v_fma_f64 v[42:43], v[36:37], v[30:31], v[42:43]
	v_fma_f64 v[42:43], v[38:39], v[32:33], v[42:43]
	v_fma_f64 v[178:179], v[252:253], v[42:43], v[178:179]
	v_mul_f64 v[42:43], v[40:41], v[28:29]
	buffer_store_dword v179, off, s[0:3], 0 offset:340
	buffer_store_dword v178, off, s[0:3], 0 offset:336
	buffer_store_dword v179, off, s[0:3], 0 offset:428
	buffer_store_dword v178, off, s[0:3], 0 offset:424
	v_fma_f64 v[42:43], v[36:37], v[24:25], v[42:43]
	v_fma_f64 v[42:43], v[38:39], v[26:27], v[42:43]
	v_fma_f64 v[176:177], v[252:253], v[42:43], v[176:177]
	v_mul_f64 v[42:43], v[40:41], v[22:23]
	buffer_store_dword v177, off, s[0:3], 0 offset:348
	buffer_store_dword v176, off, s[0:3], 0 offset:344
	;; [unrolled: 8-line block ×5, first 2 shown]
	buffer_store_dword v171, off, s[0:3], 0 offset:812
	buffer_store_dword v170, off, s[0:3], 0 offset:808
	v_fma_f64 v[42:43], v[36:37], v[8:9], v[42:43]
	v_fma_f64 v[42:43], v[38:39], v[10:11], v[42:43]
	;; [unrolled: 1-line block ×3, first 2 shown]
	v_mul_f64 v[42:43], v[40:41], v[6:7]
	v_mul_f64 v[40:41], v[40:41], v[0:1]
	buffer_store_dword v169, off, s[0:3], 0 offset:380
	buffer_store_dword v168, off, s[0:3], 0 offset:376
	;; [unrolled: 1-line block ×4, first 2 shown]
	v_fma_f64 v[42:43], v[36:37], v[2:3], v[42:43]
	v_fma_f64 v[36:37], v[36:37], v[254:255], v[40:41]
	v_fma_f64 v[42:43], v[38:39], v[4:5], v[42:43]
	v_fma_f64 v[36:37], v[38:39], v[250:251], v[36:37]
	v_fma_f64 v[166:167], v[252:253], v[42:43], v[166:167]
	v_fma_f64 v[164:165], v[252:253], v[36:37], v[98:99]
	v_mul_f64 v[36:37], v[34:35], v[34:35]
	s_clause 0x1
	buffer_load_dword v43, off, s[0:3], 0 offset:1720
	buffer_load_dword v44, off, s[0:3], 0 offset:1724
	buffer_store_dword v167, off, s[0:3], 0 offset:388
	buffer_store_dword v166, off, s[0:3], 0 offset:384
	;; [unrolled: 1-line block ×4, first 2 shown]
	s_clause 0x1
	buffer_load_dword v41, off, s[0:3], 0 offset:1704
	buffer_load_dword v42, off, s[0:3], 0 offset:1708
	v_fma_f64 v[36:37], v[30:31], v[30:31], v[36:37]
	s_clause 0x1
	buffer_load_dword v39, off, s[0:3], 0 offset:1696
	buffer_load_dword v40, off, s[0:3], 0 offset:1700
	buffer_store_dword v165, off, s[0:3], 0 offset:396
	buffer_store_dword v164, off, s[0:3], 0 offset:392
	;; [unrolled: 1-line block ×4, first 2 shown]
	v_fma_f64 v[36:37], v[32:33], v[32:33], v[36:37]
	v_fma_f64 v[222:223], v[252:253], v[36:37], v[100:101]
	v_mul_f64 v[36:37], v[34:35], v[28:29]
	buffer_store_dword v223, off, s[0:3], 0 offset:436
	buffer_store_dword v222, off, s[0:3], 0 offset:432
	v_fma_f64 v[36:37], v[30:31], v[24:25], v[36:37]
	v_fma_f64 v[36:37], v[32:33], v[26:27], v[36:37]
	v_fma_f64 v[160:161], v[252:253], v[36:37], v[104:105]
	v_mul_f64 v[36:37], v[34:35], v[22:23]
	buffer_store_dword v161, off, s[0:3], 0 offset:444
	buffer_store_dword v160, off, s[0:3], 0 offset:440
	buffer_store_dword v161, off, s[0:3], 0 offset:532
	buffer_store_dword v160, off, s[0:3], 0 offset:528
	v_fma_f64 v[36:37], v[30:31], v[18:19], v[36:37]
	v_fma_f64 v[36:37], v[32:33], v[20:21], v[36:37]
	v_fma_f64 v[200:201], v[252:253], v[36:37], v[158:159]
	v_mul_f64 v[36:37], v[34:35], v[64:65]
	buffer_store_dword v201, off, s[0:3], 0 offset:452
	buffer_store_dword v200, off, s[0:3], 0 offset:448
	;; [unrolled: 8-line block ×4, first 2 shown]
	buffer_store_dword v157, off, s[0:3], 0 offset:820
	buffer_store_dword v156, off, s[0:3], 0 offset:816
	v_fma_f64 v[36:37], v[30:31], v[8:9], v[36:37]
	v_fma_f64 v[36:37], v[32:33], v[10:11], v[36:37]
	;; [unrolled: 1-line block ×3, first 2 shown]
	v_mul_f64 v[36:37], v[34:35], v[6:7]
	v_mul_f64 v[34:35], v[34:35], v[0:1]
	buffer_store_dword v155, off, s[0:3], 0 offset:476
	buffer_store_dword v154, off, s[0:3], 0 offset:472
	;; [unrolled: 1-line block ×4, first 2 shown]
	v_fma_f64 v[36:37], v[30:31], v[2:3], v[36:37]
	v_fma_f64 v[30:31], v[30:31], v[254:255], v[34:35]
	;; [unrolled: 1-line block ×6, first 2 shown]
	v_mul_f64 v[30:31], v[28:29], v[28:29]
	s_clause 0x1
	buffer_load_dword v37, off, s[0:3], 0 offset:1680
	buffer_load_dword v38, off, s[0:3], 0 offset:1684
	buffer_store_dword v153, off, s[0:3], 0 offset:484
	buffer_store_dword v152, off, s[0:3], 0 offset:480
	;; [unrolled: 1-line block ×4, first 2 shown]
	s_clause 0x1
	buffer_load_dword v35, off, s[0:3], 0 offset:1672
	buffer_load_dword v36, off, s[0:3], 0 offset:1676
	v_fma_f64 v[30:31], v[24:25], v[24:25], v[30:31]
	s_clause 0x1
	buffer_load_dword v33, off, s[0:3], 0 offset:1688
	buffer_load_dword v34, off, s[0:3], 0 offset:1692
	buffer_store_dword v151, off, s[0:3], 0 offset:492
	buffer_store_dword v150, off, s[0:3], 0 offset:488
	;; [unrolled: 1-line block ×4, first 2 shown]
	v_fma_f64 v[30:31], v[26:27], v[26:27], v[30:31]
	v_fma_f64 v[148:149], v[252:253], v[30:31], v[246:247]
	v_mul_f64 v[30:31], v[28:29], v[22:23]
	buffer_store_dword v149, off, s[0:3], 0 offset:540
	buffer_store_dword v148, off, s[0:3], 0 offset:536
	v_fma_f64 v[30:31], v[24:25], v[18:19], v[30:31]
	v_fma_f64 v[30:31], v[26:27], v[20:21], v[30:31]
	v_fma_f64 v[144:145], v[252:253], v[30:31], v[144:145]
	v_mul_f64 v[30:31], v[28:29], v[64:65]
	buffer_store_dword v145, off, s[0:3], 0 offset:548
	buffer_store_dword v144, off, s[0:3], 0 offset:544
	buffer_store_dword v145, off, s[0:3], 0 offset:636
	buffer_store_dword v144, off, s[0:3], 0 offset:632
	v_fma_f64 v[30:31], v[24:25], v[56:57], v[30:31]
	v_fma_f64 v[30:31], v[26:27], v[60:61], v[30:31]
	v_fma_f64 v[142:143], v[252:253], v[30:31], v[142:143]
	v_mul_f64 v[30:31], v[28:29], v[50:51]
	buffer_store_dword v143, off, s[0:3], 0 offset:556
	buffer_store_dword v142, off, s[0:3], 0 offset:552
	;; [unrolled: 8-line block ×3, first 2 shown]
	buffer_store_dword v141, off, s[0:3], 0 offset:828
	buffer_store_dword v140, off, s[0:3], 0 offset:824
	v_fma_f64 v[30:31], v[24:25], v[8:9], v[30:31]
	v_fma_f64 v[30:31], v[26:27], v[10:11], v[30:31]
	;; [unrolled: 1-line block ×3, first 2 shown]
	v_mul_f64 v[30:31], v[28:29], v[6:7]
	v_mul_f64 v[28:29], v[28:29], v[0:1]
	buffer_store_dword v139, off, s[0:3], 0 offset:572
	buffer_store_dword v138, off, s[0:3], 0 offset:568
	;; [unrolled: 1-line block ×4, first 2 shown]
	v_fma_f64 v[30:31], v[24:25], v[2:3], v[30:31]
	v_fma_f64 v[24:25], v[24:25], v[254:255], v[28:29]
	;; [unrolled: 1-line block ×6, first 2 shown]
	v_mul_f64 v[24:25], v[22:23], v[22:23]
	s_clause 0x1
	buffer_load_dword v30, off, s[0:3], 0 offset:1648
	buffer_load_dword v31, off, s[0:3], 0 offset:1652
	buffer_store_dword v137, off, s[0:3], 0 offset:580
	buffer_store_dword v136, off, s[0:3], 0 offset:576
	;; [unrolled: 1-line block ×4, first 2 shown]
	s_clause 0x1
	buffer_load_dword v28, off, s[0:3], 0 offset:1616
	buffer_load_dword v29, off, s[0:3], 0 offset:1620
	v_fma_f64 v[24:25], v[18:19], v[18:19], v[24:25]
	buffer_store_dword v46, off, s[0:3], 0 offset:588
	buffer_store_dword v45, off, s[0:3], 0 offset:584
	;; [unrolled: 1-line block ×4, first 2 shown]
	v_fma_f64 v[24:25], v[20:21], v[20:21], v[24:25]
	v_fma_f64 v[26:27], v[252:253], v[24:25], v[180:181]
	v_mul_f64 v[24:25], v[22:23], v[64:65]
	buffer_store_dword v27, off, s[0:3], 0 offset:644
	buffer_store_dword v26, off, s[0:3], 0 offset:640
	v_fma_f64 v[24:25], v[18:19], v[56:57], v[24:25]
	v_fma_f64 v[24:25], v[20:21], v[60:61], v[24:25]
	;; [unrolled: 1-line block ×3, first 2 shown]
	v_mul_f64 v[24:25], v[22:23], v[50:51]
	buffer_store_dword v131, off, s[0:3], 0 offset:652
	buffer_store_dword v130, off, s[0:3], 0 offset:648
	;; [unrolled: 1-line block ×4, first 2 shown]
	v_fma_f64 v[24:25], v[18:19], v[14:15], v[24:25]
	v_fma_f64 v[24:25], v[20:21], v[16:17], v[24:25]
	v_fma_f64 v[128:129], v[252:253], v[24:25], v[128:129]
	v_mul_f64 v[24:25], v[22:23], v[12:13]
	buffer_store_dword v129, off, s[0:3], 0 offset:660
	buffer_store_dword v128, off, s[0:3], 0 offset:656
	;; [unrolled: 1-line block ×4, first 2 shown]
	v_fma_f64 v[24:25], v[18:19], v[8:9], v[24:25]
	v_fma_f64 v[24:25], v[20:21], v[10:11], v[24:25]
	;; [unrolled: 1-line block ×3, first 2 shown]
	v_mul_f64 v[24:25], v[22:23], v[6:7]
	v_mul_f64 v[22:23], v[22:23], v[0:1]
	buffer_store_dword v127, off, s[0:3], 0 offset:668
	buffer_store_dword v126, off, s[0:3], 0 offset:664
	;; [unrolled: 1-line block ×4, first 2 shown]
	v_fma_f64 v[24:25], v[18:19], v[2:3], v[24:25]
	v_fma_f64 v[18:19], v[18:19], v[254:255], v[22:23]
	;; [unrolled: 1-line block ×6, first 2 shown]
	v_mul_f64 v[18:19], v[64:65], v[64:65]
	buffer_store_dword v125, off, s[0:3], 0 offset:676
	buffer_store_dword v124, off, s[0:3], 0 offset:672
	;; [unrolled: 1-line block ×8, first 2 shown]
	v_fma_f64 v[18:19], v[56:57], v[56:57], v[18:19]
	v_fma_f64 v[18:19], v[60:61], v[60:61], v[18:19]
	;; [unrolled: 1-line block ×3, first 2 shown]
	v_mul_f64 v[18:19], v[64:65], v[50:51]
	buffer_store_dword v115, off, s[0:3], 0 offset:748
	buffer_store_dword v114, off, s[0:3], 0 offset:744
	v_fma_f64 v[18:19], v[56:57], v[14:15], v[18:19]
	v_fma_f64 v[18:19], v[60:61], v[16:17], v[18:19]
	v_fma_f64 v[112:113], v[252:253], v[18:19], v[118:119]
	v_mul_f64 v[18:19], v[64:65], v[12:13]
	buffer_store_dword v113, off, s[0:3], 0 offset:756
	buffer_store_dword v112, off, s[0:3], 0 offset:752
	buffer_store_dword v113, off, s[0:3], 0 offset:844
	buffer_store_dword v112, off, s[0:3], 0 offset:840
	v_fma_f64 v[18:19], v[56:57], v[8:9], v[18:19]
	v_fma_f64 v[18:19], v[60:61], v[10:11], v[18:19]
	v_fma_f64 v[108:109], v[252:253], v[18:19], v[116:117]
	v_mul_f64 v[18:19], v[64:65], v[6:7]
	buffer_store_dword v109, off, s[0:3], 0 offset:764
	buffer_store_dword v108, off, s[0:3], 0 offset:760
	;; [unrolled: 8-line block ×3, first 2 shown]
	buffer_store_dword v107, off, s[0:3], 0 offset:1036
	buffer_store_dword v106, off, s[0:3], 0 offset:1032
	v_fma_f64 v[18:19], v[56:57], v[254:255], v[18:19]
	s_clause 0x7
	buffer_load_dword v65, off, s[0:3], 0 offset:1600
	buffer_load_dword v66, off, s[0:3], 0 offset:1604
	;; [unrolled: 1-line block ×8, first 2 shown]
	v_fma_f64 v[18:19], v[60:61], v[250:251], v[18:19]
	s_clause 0x3
	buffer_load_dword v61, off, s[0:3], 0 offset:1584
	buffer_load_dword v62, off, s[0:3], 0 offset:1588
	;; [unrolled: 1-line block ×4, first 2 shown]
	v_fma_f64 v[104:105], v[252:253], v[18:19], v[102:103]
	v_mul_f64 v[18:19], v[50:51], v[50:51]
	buffer_store_dword v105, off, s[0:3], 0 offset:780
	buffer_store_dword v104, off, s[0:3], 0 offset:776
	;; [unrolled: 1-line block ×4, first 2 shown]
	v_fma_f64 v[18:19], v[14:15], v[14:15], v[18:19]
	v_fma_f64 v[18:19], v[16:17], v[16:17], v[18:19]
	;; [unrolled: 1-line block ×3, first 2 shown]
	v_mul_f64 v[18:19], v[50:51], v[12:13]
	buffer_store_dword v103, off, s[0:3], 0 offset:852
	buffer_store_dword v102, off, s[0:3], 0 offset:848
	v_fma_f64 v[18:19], v[14:15], v[8:9], v[18:19]
	v_fma_f64 v[18:19], v[16:17], v[10:11], v[18:19]
	;; [unrolled: 1-line block ×3, first 2 shown]
	v_mul_f64 v[18:19], v[50:51], v[6:7]
	buffer_store_dword v101, off, s[0:3], 0 offset:860
	buffer_store_dword v100, off, s[0:3], 0 offset:856
	buffer_store_dword v101, off, s[0:3], 0 offset:948
	buffer_store_dword v100, off, s[0:3], 0 offset:944
	v_fma_f64 v[18:19], v[14:15], v[2:3], v[18:19]
	v_fma_f64 v[18:19], v[16:17], v[4:5], v[18:19]
	;; [unrolled: 1-line block ×3, first 2 shown]
	v_mul_f64 v[18:19], v[50:51], v[0:1]
	buffer_store_dword v99, off, s[0:3], 0 offset:868
	buffer_store_dword v98, off, s[0:3], 0 offset:864
	;; [unrolled: 1-line block ×4, first 2 shown]
	v_fma_f64 v[14:15], v[14:15], v[254:255], v[18:19]
	s_clause 0x3
	buffer_load_dword v51, off, s[0:3], 0 offset:1544
	buffer_load_dword v52, off, s[0:3], 0 offset:1548
	;; [unrolled: 1-line block ×4, first 2 shown]
	v_fma_f64 v[14:15], v[16:17], v[250:251], v[14:15]
	v_fma_f64 v[94:95], v[252:253], v[14:15], v[88:89]
	v_mul_f64 v[14:15], v[12:13], v[12:13]
	buffer_store_dword v95, off, s[0:3], 0 offset:876
	buffer_store_dword v94, off, s[0:3], 0 offset:872
	buffer_store_dword v95, off, s[0:3], 0 offset:1140
	buffer_store_dword v94, off, s[0:3], 0 offset:1136
	v_fma_f64 v[14:15], v[8:9], v[8:9], v[14:15]
	v_fma_f64 v[14:15], v[10:11], v[10:11], v[14:15]
	;; [unrolled: 1-line block ×3, first 2 shown]
	v_mul_f64 v[14:15], v[12:13], v[6:7]
	v_mul_f64 v[12:13], v[12:13], v[0:1]
	buffer_store_dword v93, off, s[0:3], 0 offset:956
	buffer_store_dword v92, off, s[0:3], 0 offset:952
	v_fma_f64 v[14:15], v[8:9], v[2:3], v[14:15]
	v_fma_f64 v[8:9], v[8:9], v[254:255], v[12:13]
	v_fma_f64 v[14:15], v[10:11], v[4:5], v[14:15]
	v_fma_f64 v[8:9], v[10:11], v[250:251], v[8:9]
	v_fma_f64 v[90:91], v[252:253], v[14:15], v[96:97]
	v_fma_f64 v[88:89], v[252:253], v[8:9], v[82:83]
	v_mul_f64 v[8:9], v[6:7], v[6:7]
	v_mul_f64 v[6:7], v[6:7], v[0:1]
	;; [unrolled: 1-line block ×3, first 2 shown]
	buffer_store_dword v91, off, s[0:3], 0 offset:964
	buffer_store_dword v90, off, s[0:3], 0 offset:960
	;; [unrolled: 1-line block ×4, first 2 shown]
	s_clause 0x1
	buffer_load_dword v82, off, s[0:3], 0 offset:1664
	buffer_load_dword v83, off, s[0:3], 0 offset:1668
	v_fma_f64 v[8:9], v[2:3], v[2:3], v[8:9]
	v_fma_f64 v[2:3], v[2:3], v[254:255], v[6:7]
	;; [unrolled: 1-line block ×3, first 2 shown]
	buffer_store_dword v89, off, s[0:3], 0 offset:972
	buffer_store_dword v88, off, s[0:3], 0 offset:968
	;; [unrolled: 1-line block ×4, first 2 shown]
	v_fma_f64 v[8:9], v[4:5], v[4:5], v[8:9]
	v_fma_f64 v[2:3], v[4:5], v[250:251], v[2:3]
	;; [unrolled: 1-line block ×5, first 2 shown]
	buffer_store_dword v87, off, s[0:3], 0 offset:1060
	buffer_store_dword v86, off, s[0:3], 0 offset:1056
	s_clause 0x1
	buffer_load_dword v78, off, s[0:3], 0 offset:1640
	buffer_load_dword v79, off, s[0:3], 0 offset:1644
	buffer_store_dword v85, off, s[0:3], 0 offset:1068
	buffer_store_dword v84, off, s[0:3], 0 offset:1064
	;; [unrolled: 1-line block ×4, first 2 shown]
	v_fma_f64 v[96:97], v[252:253], v[0:1], v[68:69]
	s_clause 0x3
	buffer_load_dword v69, off, s[0:3], 0 offset:1624
	buffer_load_dword v70, off, s[0:3], 0 offset:1628
	;; [unrolled: 1-line block ×4, first 2 shown]
	buffer_store_dword v97, off, s[0:3], 0 offset:1164
	buffer_store_dword v96, off, s[0:3], 0 offset:1160
	s_cbranch_vccz .LBB1_5
; %bb.6:                                ;   in Loop: Header=BB1_4 Depth=2
	s_clause 0x5
	buffer_load_dword v4, off, s[0:3], 0 offset:1184
	buffer_load_dword v5, off, s[0:3], 0 offset:1188
	;; [unrolled: 1-line block ×6, first 2 shown]
	s_mov_b32 s18, 8
	s_and_b32 vcc_lo, exec_lo, s21
	s_mov_b32 s4, 0
	s_cbranch_vccnz .LBB1_2
; %bb.7:                                ;   in Loop: Header=BB1_4 Depth=2
	s_mov_b64 s[16:17], s[12:13]
	s_branch .LBB1_4
.LBB1_8:
	s_waitcnt vmcnt(0)
	v_mov_b32_e32 v0, 0
	v_mov_b32_e32 v1, 0
.LBB1_9:                                ; =>This Inner Loop Header: Depth=1
	v_add_nc_u32_e64 v69, s4, 16
	s_addk_i32 s4, 0x120
	s_clause 0x3e
	buffer_load_dword v2, v69, s[0:3], 0 offen
	buffer_load_dword v3, v69, s[0:3], 0 offen offset:4
	buffer_load_dword v5, v69, s[0:3], 0 offen offset:100
	;; [unrolled: 1-line block ×62, first 2 shown]
	s_clause 0x8
	buffer_load_dword v61, v69, s[0:3], 0 offen offset:188
	buffer_load_dword v67, v69, s[0:3], 0 offen offset:260
	;; [unrolled: 1-line block ×9, first 2 shown]
	s_cmpk_lg_i32 s4, 0x480
	s_waitcnt vmcnt(62)
	v_add_f64 v[2:3], v[2:3], 0
	v_add_f64 v[4:5], v[4:5], 0
	;; [unrolled: 1-line block ×3, first 2 shown]
	s_waitcnt vmcnt(55)
	v_add_f64 v[12:13], v[14:15], 0
	v_add_f64 v[4:5], v[4:5], v[10:11]
	s_waitcnt vmcnt(53)
	v_add_f64 v[2:3], v[2:3], v[22:23]
	s_waitcnt vmcnt(52)
	v_add_f64 v[10:11], v[12:13], v[20:21]
	v_add_f64 v[4:5], v[4:5], v[8:9]
	s_waitcnt vmcnt(48)
	v_add_f64 v[2:3], v[2:3], v[24:25]
	v_add_f64 v[8:9], v[10:11], v[18:19]
	;; [unrolled: 1-line block ×3, first 2 shown]
	s_waitcnt vmcnt(46)
	v_add_f64 v[2:3], v[2:3], v[26:27]
	v_add_f64 v[6:7], v[8:9], v[16:17]
	s_waitcnt vmcnt(41)
	v_add_f64 v[4:5], v[4:5], v[28:29]
	s_waitcnt vmcnt(39)
	v_add_f64 v[2:3], v[2:3], v[36:37]
	s_waitcnt vmcnt(31)
	v_add_f64 v[6:7], v[6:7], v[38:39]
	v_add_f64 v[4:5], v[4:5], v[34:35]
	s_waitcnt vmcnt(29)
	v_add_f64 v[2:3], v[2:3], v[46:47]
	s_waitcnt vmcnt(28)
	v_add_f64 v[6:7], v[6:7], v[44:45]
	v_add_f64 v[4:5], v[4:5], v[32:33]
	s_waitcnt vmcnt(24)
	v_add_f64 v[2:3], v[2:3], v[48:49]
	v_add_f64 v[6:7], v[6:7], v[42:43]
	;; [unrolled: 1-line block ×3, first 2 shown]
	s_waitcnt vmcnt(19)
	v_add_f64 v[2:3], v[2:3], v[50:51]
	v_add_f64 v[6:7], v[6:7], v[40:41]
	s_waitcnt vmcnt(11)
	v_add_f64 v[4:5], v[4:5], v[58:59]
	v_add_f64 v[2:3], v[2:3], v[56:57]
	;; [unrolled: 3-line block ×3, first 2 shown]
	v_add_f64 v[2:3], v[2:3], v[54:55]
	s_waitcnt vmcnt(2)
	v_add_f64 v[6:7], v[6:7], v[72:73]
	v_add_f64 v[4:5], v[4:5], v[62:63]
	v_add_f64 v[2:3], v[2:3], v[52:53]
	s_waitcnt vmcnt(1)
	v_add_f64 v[6:7], v[6:7], v[70:71]
	v_add_f64 v[4:5], v[4:5], v[60:61]
	v_add_f64 v[0:1], v[0:1], v[2:3]
	s_waitcnt vmcnt(0)
	v_add_f64 v[2:3], v[6:7], v[68:69]
	v_add_f64 v[0:1], v[0:1], v[4:5]
	v_add_f64 v[0:1], v[0:1], v[2:3]
	s_cbranch_scc1 .LBB1_9
; %bb.10:
	s_clause 0x1
	buffer_load_dword v2, off, s[0:3], 0 offset:1824
	buffer_load_dword v3, off, s[0:3], 0 offset:1828
	s_waitcnt vmcnt(1)
	v_add_co_u32 v2, vcc_lo, s6, v2
	s_waitcnt vmcnt(0)
	v_add_co_ci_u32_e64 v3, null, s7, v3, vcc_lo
	global_store_dwordx2 v[2:3], v[0:1], off
.LBB1_11:
	s_endpgm
	.section	.rodata,"a",@progbits
	.p2align	6, 0x0
	.amdhsa_kernel _ZN8rajaperf17lambda_hip_forallILm256EZNS_4apps6EDGE3D17runHipVariantImplILm256EEEvNS_9VariantIDEEUllE_EEvllT0_
		.amdhsa_group_segment_fixed_size 0
		.amdhsa_private_segment_fixed_size 1840
		.amdhsa_kernarg_size 216
		.amdhsa_user_sgpr_count 6
		.amdhsa_user_sgpr_private_segment_buffer 1
		.amdhsa_user_sgpr_dispatch_ptr 0
		.amdhsa_user_sgpr_queue_ptr 0
		.amdhsa_user_sgpr_kernarg_segment_ptr 1
		.amdhsa_user_sgpr_dispatch_id 0
		.amdhsa_user_sgpr_flat_scratch_init 0
		.amdhsa_user_sgpr_private_segment_size 0
		.amdhsa_wavefront_size32 1
		.amdhsa_uses_dynamic_stack 0
		.amdhsa_system_sgpr_private_segment_wavefront_offset 1
		.amdhsa_system_sgpr_workgroup_id_x 1
		.amdhsa_system_sgpr_workgroup_id_y 0
		.amdhsa_system_sgpr_workgroup_id_z 0
		.amdhsa_system_sgpr_workgroup_info 0
		.amdhsa_system_vgpr_workitem_id 0
		.amdhsa_next_free_vgpr 256
		.amdhsa_next_free_sgpr 52
		.amdhsa_reserve_vcc 1
		.amdhsa_reserve_flat_scratch 0
		.amdhsa_float_round_mode_32 0
		.amdhsa_float_round_mode_16_64 0
		.amdhsa_float_denorm_mode_32 3
		.amdhsa_float_denorm_mode_16_64 3
		.amdhsa_dx10_clamp 1
		.amdhsa_ieee_mode 1
		.amdhsa_fp16_overflow 0
		.amdhsa_workgroup_processor_mode 1
		.amdhsa_memory_ordered 1
		.amdhsa_forward_progress 1
		.amdhsa_shared_vgpr_count 0
		.amdhsa_exception_fp_ieee_invalid_op 0
		.amdhsa_exception_fp_denorm_src 0
		.amdhsa_exception_fp_ieee_div_zero 0
		.amdhsa_exception_fp_ieee_overflow 0
		.amdhsa_exception_fp_ieee_underflow 0
		.amdhsa_exception_fp_ieee_inexact 0
		.amdhsa_exception_int_div_zero 0
	.end_amdhsa_kernel
	.section	.text._ZN8rajaperf17lambda_hip_forallILm256EZNS_4apps6EDGE3D17runHipVariantImplILm256EEEvNS_9VariantIDEEUllE_EEvllT0_,"axG",@progbits,_ZN8rajaperf17lambda_hip_forallILm256EZNS_4apps6EDGE3D17runHipVariantImplILm256EEEvNS_9VariantIDEEUllE_EEvllT0_,comdat
.Lfunc_end1:
	.size	_ZN8rajaperf17lambda_hip_forallILm256EZNS_4apps6EDGE3D17runHipVariantImplILm256EEEvNS_9VariantIDEEUllE_EEvllT0_, .Lfunc_end1-_ZN8rajaperf17lambda_hip_forallILm256EZNS_4apps6EDGE3D17runHipVariantImplILm256EEEvNS_9VariantIDEEUllE_EEvllT0_
                                        ; -- End function
	.set _ZN8rajaperf17lambda_hip_forallILm256EZNS_4apps6EDGE3D17runHipVariantImplILm256EEEvNS_9VariantIDEEUllE_EEvllT0_.num_vgpr, 256
	.set _ZN8rajaperf17lambda_hip_forallILm256EZNS_4apps6EDGE3D17runHipVariantImplILm256EEEvNS_9VariantIDEEUllE_EEvllT0_.num_agpr, 0
	.set _ZN8rajaperf17lambda_hip_forallILm256EZNS_4apps6EDGE3D17runHipVariantImplILm256EEEvNS_9VariantIDEEUllE_EEvllT0_.numbered_sgpr, 52
	.set _ZN8rajaperf17lambda_hip_forallILm256EZNS_4apps6EDGE3D17runHipVariantImplILm256EEEvNS_9VariantIDEEUllE_EEvllT0_.num_named_barrier, 0
	.set _ZN8rajaperf17lambda_hip_forallILm256EZNS_4apps6EDGE3D17runHipVariantImplILm256EEEvNS_9VariantIDEEUllE_EEvllT0_.private_seg_size, 1840
	.set _ZN8rajaperf17lambda_hip_forallILm256EZNS_4apps6EDGE3D17runHipVariantImplILm256EEEvNS_9VariantIDEEUllE_EEvllT0_.uses_vcc, 1
	.set _ZN8rajaperf17lambda_hip_forallILm256EZNS_4apps6EDGE3D17runHipVariantImplILm256EEEvNS_9VariantIDEEUllE_EEvllT0_.uses_flat_scratch, 0
	.set _ZN8rajaperf17lambda_hip_forallILm256EZNS_4apps6EDGE3D17runHipVariantImplILm256EEEvNS_9VariantIDEEUllE_EEvllT0_.has_dyn_sized_stack, 0
	.set _ZN8rajaperf17lambda_hip_forallILm256EZNS_4apps6EDGE3D17runHipVariantImplILm256EEEvNS_9VariantIDEEUllE_EEvllT0_.has_recursion, 0
	.set _ZN8rajaperf17lambda_hip_forallILm256EZNS_4apps6EDGE3D17runHipVariantImplILm256EEEvNS_9VariantIDEEUllE_EEvllT0_.has_indirect_call, 0
	.section	.AMDGPU.csdata,"",@progbits
; Kernel info:
; codeLenInByte = 19404
; TotalNumSgprs: 54
; NumVgprs: 256
; ScratchSize: 1840
; MemoryBound: 0
; FloatMode: 240
; IeeeMode: 1
; LDSByteSize: 0 bytes/workgroup (compile time only)
; SGPRBlocks: 0
; VGPRBlocks: 31
; NumSGPRsForWavesPerEU: 54
; NumVGPRsForWavesPerEU: 256
; Occupancy: 4
; WaveLimiterHint : 1
; COMPUTE_PGM_RSRC2:SCRATCH_EN: 1
; COMPUTE_PGM_RSRC2:USER_SGPR: 6
; COMPUTE_PGM_RSRC2:TRAP_HANDLER: 0
; COMPUTE_PGM_RSRC2:TGID_X_EN: 1
; COMPUTE_PGM_RSRC2:TGID_Y_EN: 0
; COMPUTE_PGM_RSRC2:TGID_Z_EN: 0
; COMPUTE_PGM_RSRC2:TIDIG_COMP_CNT: 0
	.section	.text._ZN4RAJA6policy3hip4impl18forallp_hip_kernelINS1_8hip_execINS_17iteration_mapping6DirectENS_3hip11IndexGlobalILNS_9named_dimE0ELi256ELi0EEENS7_40AvoidDeviceMaxThreadOccupancyConcretizerINS7_34FractionOffsetOccupancyConcretizerINS_8FractionImLm1ELm1EEELln1EEEEELb1EEENS_9Iterators16numeric_iteratorIllPlEEZN8rajaperf4apps6EDGE3D17runHipVariantImplILm256EEEvNSM_9VariantIDEEUllE0_lNS_4expt15ForallParamPackIJEEES6_SA_TnNSt9enable_ifIXaasr3std10is_base_ofINS5_10DirectBaseET4_EE5valuegtsrT5_10block_sizeLi0EEmE4typeELm256EEEvT1_T0_T2_T3_,"axG",@progbits,_ZN4RAJA6policy3hip4impl18forallp_hip_kernelINS1_8hip_execINS_17iteration_mapping6DirectENS_3hip11IndexGlobalILNS_9named_dimE0ELi256ELi0EEENS7_40AvoidDeviceMaxThreadOccupancyConcretizerINS7_34FractionOffsetOccupancyConcretizerINS_8FractionImLm1ELm1EEELln1EEEEELb1EEENS_9Iterators16numeric_iteratorIllPlEEZN8rajaperf4apps6EDGE3D17runHipVariantImplILm256EEEvNSM_9VariantIDEEUllE0_lNS_4expt15ForallParamPackIJEEES6_SA_TnNSt9enable_ifIXaasr3std10is_base_ofINS5_10DirectBaseET4_EE5valuegtsrT5_10block_sizeLi0EEmE4typeELm256EEEvT1_T0_T2_T3_,comdat
	.protected	_ZN4RAJA6policy3hip4impl18forallp_hip_kernelINS1_8hip_execINS_17iteration_mapping6DirectENS_3hip11IndexGlobalILNS_9named_dimE0ELi256ELi0EEENS7_40AvoidDeviceMaxThreadOccupancyConcretizerINS7_34FractionOffsetOccupancyConcretizerINS_8FractionImLm1ELm1EEELln1EEEEELb1EEENS_9Iterators16numeric_iteratorIllPlEEZN8rajaperf4apps6EDGE3D17runHipVariantImplILm256EEEvNSM_9VariantIDEEUllE0_lNS_4expt15ForallParamPackIJEEES6_SA_TnNSt9enable_ifIXaasr3std10is_base_ofINS5_10DirectBaseET4_EE5valuegtsrT5_10block_sizeLi0EEmE4typeELm256EEEvT1_T0_T2_T3_ ; -- Begin function _ZN4RAJA6policy3hip4impl18forallp_hip_kernelINS1_8hip_execINS_17iteration_mapping6DirectENS_3hip11IndexGlobalILNS_9named_dimE0ELi256ELi0EEENS7_40AvoidDeviceMaxThreadOccupancyConcretizerINS7_34FractionOffsetOccupancyConcretizerINS_8FractionImLm1ELm1EEELln1EEEEELb1EEENS_9Iterators16numeric_iteratorIllPlEEZN8rajaperf4apps6EDGE3D17runHipVariantImplILm256EEEvNSM_9VariantIDEEUllE0_lNS_4expt15ForallParamPackIJEEES6_SA_TnNSt9enable_ifIXaasr3std10is_base_ofINS5_10DirectBaseET4_EE5valuegtsrT5_10block_sizeLi0EEmE4typeELm256EEEvT1_T0_T2_T3_
	.globl	_ZN4RAJA6policy3hip4impl18forallp_hip_kernelINS1_8hip_execINS_17iteration_mapping6DirectENS_3hip11IndexGlobalILNS_9named_dimE0ELi256ELi0EEENS7_40AvoidDeviceMaxThreadOccupancyConcretizerINS7_34FractionOffsetOccupancyConcretizerINS_8FractionImLm1ELm1EEELln1EEEEELb1EEENS_9Iterators16numeric_iteratorIllPlEEZN8rajaperf4apps6EDGE3D17runHipVariantImplILm256EEEvNSM_9VariantIDEEUllE0_lNS_4expt15ForallParamPackIJEEES6_SA_TnNSt9enable_ifIXaasr3std10is_base_ofINS5_10DirectBaseET4_EE5valuegtsrT5_10block_sizeLi0EEmE4typeELm256EEEvT1_T0_T2_T3_
	.p2align	8
	.type	_ZN4RAJA6policy3hip4impl18forallp_hip_kernelINS1_8hip_execINS_17iteration_mapping6DirectENS_3hip11IndexGlobalILNS_9named_dimE0ELi256ELi0EEENS7_40AvoidDeviceMaxThreadOccupancyConcretizerINS7_34FractionOffsetOccupancyConcretizerINS_8FractionImLm1ELm1EEELln1EEEEELb1EEENS_9Iterators16numeric_iteratorIllPlEEZN8rajaperf4apps6EDGE3D17runHipVariantImplILm256EEEvNSM_9VariantIDEEUllE0_lNS_4expt15ForallParamPackIJEEES6_SA_TnNSt9enable_ifIXaasr3std10is_base_ofINS5_10DirectBaseET4_EE5valuegtsrT5_10block_sizeLi0EEmE4typeELm256EEEvT1_T0_T2_T3_,@function
_ZN4RAJA6policy3hip4impl18forallp_hip_kernelINS1_8hip_execINS_17iteration_mapping6DirectENS_3hip11IndexGlobalILNS_9named_dimE0ELi256ELi0EEENS7_40AvoidDeviceMaxThreadOccupancyConcretizerINS7_34FractionOffsetOccupancyConcretizerINS_8FractionImLm1ELm1EEELln1EEEEELb1EEENS_9Iterators16numeric_iteratorIllPlEEZN8rajaperf4apps6EDGE3D17runHipVariantImplILm256EEEvNSM_9VariantIDEEUllE0_lNS_4expt15ForallParamPackIJEEES6_SA_TnNSt9enable_ifIXaasr3std10is_base_ofINS5_10DirectBaseET4_EE5valuegtsrT5_10block_sizeLi0EEmE4typeELm256EEEvT1_T0_T2_T3_: ; @_ZN4RAJA6policy3hip4impl18forallp_hip_kernelINS1_8hip_execINS_17iteration_mapping6DirectENS_3hip11IndexGlobalILNS_9named_dimE0ELi256ELi0EEENS7_40AvoidDeviceMaxThreadOccupancyConcretizerINS7_34FractionOffsetOccupancyConcretizerINS_8FractionImLm1ELm1EEELln1EEEEELb1EEENS_9Iterators16numeric_iteratorIllPlEEZN8rajaperf4apps6EDGE3D17runHipVariantImplILm256EEEvNSM_9VariantIDEEUllE0_lNS_4expt15ForallParamPackIJEEES6_SA_TnNSt9enable_ifIXaasr3std10is_base_ofINS5_10DirectBaseET4_EE5valuegtsrT5_10block_sizeLi0EEmE4typeELm256EEEvT1_T0_T2_T3_
; %bb.0:
	s_load_dwordx2 s[8:9], s[4:5], 0xd0
	s_add_u32 s0, s0, s7
	s_mov_b32 s7, 0
	s_addc_u32 s1, s1, 0
	s_lshl_b64 s[6:7], s[6:7], 8
	v_or_b32_e32 v0, s6, v0
	v_mov_b32_e32 v1, s7
	s_mov_b32 s6, exec_lo
	s_waitcnt lgkmcnt(0)
	v_cmpx_gt_i64_e64 s[8:9], v[0:1]
	s_cbranch_execz .LBB2_11
; %bb.1:
	s_clause 0x2
	s_load_dwordx4 s[28:31], s[4:5], 0xc0
	s_load_dwordx16 s[36:51], s[4:5], 0x0
	s_load_dwordx16 s[12:27], s[4:5], 0x40
	v_mov_b32_e32 v96, 0
	v_mov_b32_e32 v84, 0
	v_mov_b32_e32 v86, 0
	v_mov_b32_e32 v88, 0
	v_mov_b32_e32 v90, 0
	v_mov_b32_e32 v92, 0
	v_mov_b32_e32 v94, 0
	v_mov_b32_e32 v98, 0
	v_mov_b32_e32 v100, 0
	v_mov_b32_e32 v102, 0
	v_mov_b32_e32 v104, 0
	v_mov_b32_e32 v106, 0
	v_mov_b32_e32 v108, 0
	v_mov_b32_e32 v112, 0
	v_mov_b32_e32 v114, 0
	v_mov_b32_e32 v122, 0
	v_mov_b32_e32 v124, 0
	s_waitcnt lgkmcnt(0)
	v_add_co_u32 v0, vcc_lo, v0, s30
	v_add_co_ci_u32_e64 v1, null, s31, v1, vcc_lo
	v_mov_b32_e32 v126, 0
	v_mov_b32_e32 v128, 0
	;; [unrolled: 1-line block ×3, first 2 shown]
	v_lshlrev_b64 v[47:48], 3, v[0:1]
	v_mov_b32_e32 v134, 0
	v_mov_b32_e32 v136, 0
	;; [unrolled: 1-line block ×5, first 2 shown]
	v_add_co_u32 v0, vcc_lo, s36, v47
	v_add_co_ci_u32_e64 v1, null, s37, v48, vcc_lo
	v_add_co_u32 v4, vcc_lo, s38, v47
	v_add_co_ci_u32_e64 v5, null, s39, v48, vcc_lo
	;; [unrolled: 2-line block ×6, first 2 shown]
	global_load_dwordx2 v[2:3], v[0:1], off
	global_load_dwordx2 v[0:1], v[4:5], off
	;; [unrolled: 1-line block ×6, first 2 shown]
	v_add_co_u32 v12, vcc_lo, s48, v47
	v_add_co_ci_u32_e64 v13, null, s49, v48, vcc_lo
	v_add_co_u32 v16, vcc_lo, s50, v47
	v_add_co_ci_u32_e64 v17, null, s51, v48, vcc_lo
	v_add_co_u32 v20, vcc_lo, s12, v47
	v_add_co_ci_u32_e64 v21, null, s13, v48, vcc_lo
	v_add_co_u32 v22, vcc_lo, s14, v47
	v_add_co_ci_u32_e64 v23, null, s15, v48, vcc_lo
	v_add_co_u32 v24, vcc_lo, s16, v47
	v_add_co_ci_u32_e64 v25, null, s17, v48, vcc_lo
	global_load_dwordx2 v[14:15], v[12:13], off
	global_load_dwordx2 v[18:19], v[16:17], off
	;; [unrolled: 1-line block ×5, first 2 shown]
	v_add_co_u32 v22, vcc_lo, s18, v47
	v_add_co_ci_u32_e64 v23, null, s19, v48, vcc_lo
	s_load_dwordx16 s[4:19], s[4:5], 0x80
	v_add_co_u32 v24, vcc_lo, s20, v47
	v_add_co_ci_u32_e64 v25, null, s21, v48, vcc_lo
	v_add_co_u32 v26, vcc_lo, s22, v47
	v_add_co_ci_u32_e64 v27, null, s23, v48, vcc_lo
	;; [unrolled: 2-line block ×4, first 2 shown]
	global_load_dwordx2 v[28:29], v[22:23], off
	global_load_dwordx2 v[24:25], v[24:25], off
	;; [unrolled: 1-line block ×5, first 2 shown]
	v_mov_b32_e32 v144, 0
	v_mov_b32_e32 v148, 0
	s_waitcnt lgkmcnt(0)
	v_add_co_u32 v32, vcc_lo, s4, v47
	v_add_co_ci_u32_e64 v33, null, s5, v48, vcc_lo
	v_add_co_u32 v34, vcc_lo, s6, v47
	v_add_co_ci_u32_e64 v35, null, s7, v48, vcc_lo
	;; [unrolled: 2-line block ×7, first 2 shown]
	v_add_co_u32 v46, vcc_lo, s18, v47
	buffer_store_dword v47, off, s[0:3], 0 offset:1824 ; 4-byte Folded Spill
	buffer_store_dword v48, off, s[0:3], 0 offset:1828 ; 4-byte Folded Spill
	v_mov_b32_e32 v150, 0
	v_mov_b32_e32 v152, 0
	v_mov_b32_e32 v154, 0
	v_mov_b32_e32 v156, 0
	v_mov_b32_e32 v158, 0
	v_mov_b32_e32 v200, 0
	v_mov_b32_e32 v160, 0
	v_mov_b32_e32 v222, 0
	v_mov_b32_e32 v164, 0
	v_mov_b32_e32 v166, 0
	v_mov_b32_e32 v168, 0
	v_mov_b32_e32 v170, 0
	v_mov_b32_e32 v172, 0
	v_mov_b32_e32 v174, 0
	v_mov_b32_e32 v176, 0
	v_mov_b32_e32 v178, 0
	v_mov_b32_e32 v248, 0
	v_mov_b32_e32 v182, 0
	v_mov_b32_e32 v184, 0
	v_mov_b32_e32 v186, 0
	v_mov_b32_e32 v188, 0
	v_mov_b32_e32 v190, 0
	v_mov_b32_e32 v192, 0
	v_mov_b32_e32 v194, 0
	v_mov_b32_e32 v196, 0
	v_mov_b32_e32 v198, 0
	v_mov_b32_e32 v202, 0
	v_mov_b32_e32 v204, 0
	v_mov_b32_e32 v206, 0
	v_mov_b32_e32 v208, 0
	v_mov_b32_e32 v210, 0
	v_mov_b32_e32 v212, 0
	v_mov_b32_e32 v214, 0
	v_mov_b32_e32 v216, 0
	v_mov_b32_e32 v218, 0
	v_mov_b32_e32 v220, 0
	v_mov_b32_e32 v224, 0
	v_mov_b32_e32 v226, 0
	v_mov_b32_e32 v228, 0
	v_mov_b32_e32 v230, 0
	v_mov_b32_e32 v232, 0
	v_mov_b32_e32 v234, 0
	v_mov_b32_e32 v236, 0
	v_mov_b32_e32 v238, 0
	v_mov_b32_e32 v240, 0
	v_mov_b32_e32 v242, 0
	v_mov_b32_e32 v244, 0
	s_mov_b32 s6, 0x74df99c7
	v_mov_b32_e32 v97, 0
	v_mov_b32_e32 v85, 0
	;; [unrolled: 1-line block ×74, first 2 shown]
	s_mov_b32 s7, 0x3fcb0cb1
	s_mov_b32 s8, 0x4ad4b81f
	;; [unrolled: 1-line block ×4, first 2 shown]
	s_mov_b32 s4, -1
	s_mov_b32 s9, 0x358dee7a
	s_mov_b32 s11, 0x3fe93cd3
	s_mov_b64 s[12:13], s[6:7]
	s_waitcnt vmcnt(13)
	v_add_f64 v[56:57], v[4:5], -v[0:1]
	s_waitcnt vmcnt(12)
	v_add_f64 v[52:53], v[10:11], -v[2:3]
	;; [unrolled: 2-line block ×3, first 2 shown]
	v_add_f64 v[54:55], v[4:5], -v[10:11]
	s_waitcnt vmcnt(10)
	v_add_f64 v[58:59], v[8:9], -v[6:7]
	s_waitcnt vmcnt(9)
	;; [unrolled: 2-line block ×3, first 2 shown]
	v_add_f64 v[60:61], v[18:19], -v[6:7]
	v_add_f64 v[62:63], v[14:15], -v[18:19]
	s_waitcnt vmcnt(6)
	v_add_f64 v[66:67], v[12:13], -v[16:17]
	s_waitcnt vmcnt(5)
	;; [unrolled: 2-line block ×6, first 2 shown]
	v_add_f64 v[78:79], v[30:31], -v[24:25]
	v_add_co_ci_u32_e64 v47, null, s19, v48, vcc_lo
	global_load_dwordx2 v[34:35], v[34:35], off
	global_load_dwordx2 v[42:43], v[42:43], off
	;; [unrolled: 1-line block ×8, first 2 shown]
	v_mov_b32_e32 v33, 0x3fe00000
	v_mov_b32_e32 v32, 0
	buffer_store_dword v33, off, s[0:3], 0 offset:4
	buffer_store_dword v33, off, s[0:3], 0 offset:12
	buffer_store_dword v32, off, s[0:3], 0
	buffer_store_dword v32, off, s[0:3], 0 offset:8
	buffer_store_dword v32, off, s[0:3], 0 offset:20
	;; [unrolled: 1-line block ×156, first 2 shown]
	buffer_store_dword v50, off, s[0:3], 0 offset:1728 ; 4-byte Folded Spill
	buffer_store_dword v51, off, s[0:3], 0 offset:1732 ; 4-byte Folded Spill
	v_add_f64 v[50:51], v[8:9], -v[0:1]
	buffer_store_dword v50, off, s[0:3], 0 offset:1736 ; 4-byte Folded Spill
	buffer_store_dword v51, off, s[0:3], 0 offset:1740 ; 4-byte Folded Spill
	v_add_f64 v[50:51], v[14:15], -v[4:5]
	;; [unrolled: 3-line block ×8, first 2 shown]
	v_mov_b32_e32 v2, 0
	v_mov_b32_e32 v4, 0
	;; [unrolled: 1-line block ×4, first 2 shown]
	v_add_f64 v[28:29], v[20:21], -v[28:29]
	v_add_f64 v[30:31], v[26:27], -v[30:31]
	s_waitcnt vmcnt(6)
	v_add_f64 v[0:1], v[42:43], -v[34:35]
	buffer_store_dword v0, off, s[0:3], 0 offset:1792 ; 4-byte Folded Spill
	buffer_store_dword v1, off, s[0:3], 0 offset:1796 ; 4-byte Folded Spill
	s_waitcnt vmcnt(3)
	v_add_f64 v[0:1], v[44:45], -v[36:37]
	buffer_store_dword v0, off, s[0:3], 0 offset:1800 ; 4-byte Folded Spill
	buffer_store_dword v1, off, s[0:3], 0 offset:1804 ; 4-byte Folded Spill
	;; [unrolled: 4-line block ×4, first 2 shown]
	v_add_f64 v[82:83], v[34:35], -v[48:49]
	v_add_f64 v[33:34], v[36:37], -v[34:35]
	;; [unrolled: 1-line block ×8, first 2 shown]
	v_mov_b32_e32 v43, 0
	v_mov_b32_e32 v0, 0
	v_mov_b32_e32 v44, 0
	v_mov_b32_e32 v1, 0
	buffer_store_dword v32, off, s[0:3], 0 offset:1160
	buffer_store_dword v50, off, s[0:3], 0 offset:1536 ; 4-byte Folded Spill
	buffer_store_dword v51, off, s[0:3], 0 offset:1540 ; 4-byte Folded Spill
	;; [unrolled: 1-line block ×48, first 2 shown]
	s_branch .LBB2_3
.LBB2_2:                                ;   in Loop: Header=BB2_3 Depth=1
	s_mov_b32 s5, 8
	s_and_b32 vcc_lo, exec_lo, s18
	s_mov_b64 s[12:13], s[10:11]
	s_cbranch_vccnz .LBB2_8
.LBB2_3:                                ; =>This Loop Header: Depth=1
                                        ;     Child Loop BB2_4 Depth 2
                                        ;       Child Loop BB2_5 Depth 3
	v_add_f64 v[74:75], -s[12:13], 1.0
	s_xor_b32 s18, s4, -1
	s_mov_b32 s4, -1
	s_mov_b32 s16, 0
	s_mov_b64 s[14:15], s[6:7]
.LBB2_4:                                ;   Parent Loop BB2_3 Depth=1
                                        ; =>  This Loop Header: Depth=2
                                        ;       Child Loop BB2_5 Depth 3
	s_waitcnt vmcnt(5)
	buffer_store_dword v4, off, s[0:3], 0 offset:1184 ; 4-byte Folded Spill
	s_waitcnt vmcnt(4)
	buffer_store_dword v5, off, s[0:3], 0 offset:1188 ; 4-byte Folded Spill
	;; [unrolled: 2-line block ×6, first 2 shown]
	v_mov_b32_e32 v1, s5
	v_mov_b32_e32 v3, s16
	v_add_f64 v[76:77], -s[14:15], 1.0
	v_mul_f64 v[14:15], s[12:13], s[14:15]
	s_mov_b32 s21, -1
	s_clause 0x9
	buffer_load_dword v0, v1, s[0:3], 0 offen
	buffer_load_dword v1, v1, s[0:3], 0 offen offset:4
	buffer_load_dword v2, v3, s[0:3], 0 offen
	buffer_load_dword v3, v3, s[0:3], 0 offen offset:4
	buffer_load_dword v4, off, s[0:3], 0 offset:1736
	buffer_load_dword v5, off, s[0:3], 0 offset:1740
	;; [unrolled: 1-line block ×6, first 2 shown]
	s_xor_b32 s19, s4, -1
	s_mov_b32 s20, 0
	s_mov_b64 s[16:17], s[6:7]
	v_mul_f64 v[10:11], s[12:13], v[76:77]
	v_mul_f64 v[12:13], v[74:75], v[76:77]
	s_waitcnt vmcnt(6)
	v_mul_f64 v[0:1], v[0:1], v[2:3]
	s_waitcnt vmcnt(4)
	;; [unrolled: 2-line block ×3, first 2 shown]
	v_mul_f64 v[6:7], v[6:7], v[10:11]
	buffer_store_dword v10, off, s[0:3], 0 offset:1480 ; 4-byte Folded Spill
	buffer_store_dword v11, off, s[0:3], 0 offset:1484 ; 4-byte Folded Spill
	s_waitcnt vmcnt(0)
	v_mul_f64 v[8:9], v[8:9], v[10:11]
	s_clause 0x1
	buffer_load_dword v10, off, s[0:3], 0 offset:1728
	buffer_load_dword v11, off, s[0:3], 0 offset:1732
	s_waitcnt vmcnt(0)
	v_fma_f64 v[4:5], v[10:11], v[12:13], v[4:5]
	s_clause 0x1
	buffer_load_dword v10, off, s[0:3], 0 offset:1760
	buffer_load_dword v11, off, s[0:3], 0 offset:1764
	s_waitcnt vmcnt(0)
	v_fma_f64 v[6:7], v[10:11], v[12:13], v[6:7]
	;; [unrolled: 5-line block ×3, first 2 shown]
	s_clause 0x1
	buffer_load_dword v10, off, s[0:3], 0 offset:1744
	buffer_load_dword v11, off, s[0:3], 0 offset:1748
	v_mul_f64 v[12:13], v[74:75], s[14:15]
	s_waitcnt vmcnt(0)
	v_fma_f64 v[4:5], v[10:11], v[14:15], v[4:5]
	s_clause 0x1
	buffer_load_dword v10, off, s[0:3], 0 offset:1776
	buffer_load_dword v11, off, s[0:3], 0 offset:1780
	s_waitcnt vmcnt(0)
	v_fma_f64 v[6:7], v[10:11], v[14:15], v[6:7]
	s_clause 0x1
	buffer_load_dword v10, off, s[0:3], 0 offset:1800
	buffer_load_dword v11, off, s[0:3], 0 offset:1804
	buffer_store_dword v14, off, s[0:3], 0 offset:1488 ; 4-byte Folded Spill
	buffer_store_dword v15, off, s[0:3], 0 offset:1492 ; 4-byte Folded Spill
	s_waitcnt vmcnt(0)
	v_fma_f64 v[8:9], v[10:11], v[14:15], v[8:9]
	s_clause 0x1
	buffer_load_dword v10, off, s[0:3], 0 offset:1752
	buffer_load_dword v11, off, s[0:3], 0 offset:1756
	s_waitcnt vmcnt(0)
	v_fma_f64 v[4:5], v[10:11], v[12:13], v[4:5]
	buffer_store_dword v4, off, s[0:3], 0 offset:1504 ; 4-byte Folded Spill
	buffer_store_dword v5, off, s[0:3], 0 offset:1508 ; 4-byte Folded Spill
	s_clause 0x1
	buffer_load_dword v4, off, s[0:3], 0 offset:1784
	buffer_load_dword v5, off, s[0:3], 0 offset:1788
	s_waitcnt vmcnt(0)
	v_fma_f64 v[4:5], v[4:5], v[12:13], v[6:7]
	buffer_store_dword v4, off, s[0:3], 0 offset:1512 ; 4-byte Folded Spill
	buffer_store_dword v5, off, s[0:3], 0 offset:1516 ; 4-byte Folded Spill
	;; [unrolled: 1-line block ×4, first 2 shown]
	s_clause 0x1
	buffer_load_dword v0, off, s[0:3], 0 offset:1816
	buffer_load_dword v1, off, s[0:3], 0 offset:1820
	buffer_store_dword v12, off, s[0:3], 0 offset:1496 ; 4-byte Folded Spill
	buffer_store_dword v13, off, s[0:3], 0 offset:1500 ; 4-byte Folded Spill
	s_waitcnt vmcnt(0)
	v_fma_f64 v[0:1], v[0:1], v[12:13], v[8:9]
	buffer_store_dword v0, off, s[0:3], 0 offset:1528 ; 4-byte Folded Spill
	buffer_store_dword v1, off, s[0:3], 0 offset:1532 ; 4-byte Folded Spill
.LBB2_5:                                ;   Parent Loop BB2_3 Depth=1
                                        ;     Parent Loop BB2_4 Depth=2
                                        ; =>    This Inner Loop Header: Depth=3
	v_cndmask_b32_e64 v0, 0, 1, s21
	buffer_store_dword v248, off, s[0:3], 0 offset:1472 ; 4-byte Folded Spill
	buffer_store_dword v249, off, s[0:3], 0 offset:1476 ; 4-byte Folded Spill
	;; [unrolled: 1-line block ×72, first 2 shown]
	v_mul_f64 v[20:21], v[76:77], s[16:17]
	v_mul_f64 v[22:23], v[74:75], s[16:17]
	;; [unrolled: 1-line block ×3, first 2 shown]
	v_cmp_ne_u32_e64 s4, 1, v0
	v_mov_b32_e32 v0, s20
	v_mul_f64 v[16:17], s[12:13], s[16:17]
	s_mov_b32 s20, 8
	s_mov_b32 s21, 0
	s_clause 0x1
	buffer_load_dword v10, v0, s[0:3], 0 offen
	buffer_load_dword v11, v0, s[0:3], 0 offen offset:4
	v_add_f64 v[0:1], -s[16:17], 1.0
	v_mul_f64 v[24:25], s[14:15], v[0:1]
	v_mul_f64 v[14:15], v[76:77], v[0:1]
	;; [unrolled: 1-line block ×4, first 2 shown]
	s_waitcnt vmcnt(36)
	v_mul_f64 v[2:3], v[54:55], v[24:25]
	s_waitcnt vmcnt(16)
	v_mul_f64 v[4:5], v[28:29], v[24:25]
	v_mul_f64 v[8:9], v[52:53], v[12:13]
	;; [unrolled: 1-line block ×3, first 2 shown]
	s_waitcnt vmcnt(2)
	v_mul_f64 v[28:29], v[68:69], v[12:13]
	v_fma_f64 v[2:3], v[50:51], v[14:15], v[2:3]
	v_fma_f64 v[4:5], v[66:67], v[14:15], v[4:5]
	;; [unrolled: 1-line block ×6, first 2 shown]
	s_clause 0x1
	buffer_load_dword v58, off, s[0:3], 0 offset:1504
	buffer_load_dword v59, off, s[0:3], 0 offset:1508
	v_fma_f64 v[8:9], v[60:61], v[22:23], v[8:9]
	s_clause 0x1
	buffer_load_dword v60, off, s[0:3], 0 offset:1512
	buffer_load_dword v61, off, s[0:3], 0 offset:1516
	v_fma_f64 v[4:5], v[72:73], v[20:21], v[4:5]
	v_fma_f64 v[6:7], v[37:38], v[20:21], v[6:7]
	v_fma_f64 v[28:29], v[78:79], v[22:23], v[28:29]
	v_fma_f64 v[2:3], v[62:63], v[18:19], v[2:3]
	s_clause 0x1
	buffer_load_dword v62, off, s[0:3], 0 offset:1528
	buffer_load_dword v63, off, s[0:3], 0 offset:1532
	v_fma_f64 v[8:9], v[64:65], v[16:17], v[8:9]
	v_fma_f64 v[4:5], v[30:31], v[18:19], v[4:5]
	v_mul_f64 v[30:31], v[48:49], v[12:13]
	v_fma_f64 v[6:7], v[46:47], v[18:19], v[6:7]
	v_fma_f64 v[28:29], v[80:81], v[16:17], v[28:29]
	;; [unrolled: 1-line block ×3, first 2 shown]
	v_mul_f64 v[34:35], v[28:29], v[6:7]
	v_fma_f64 v[30:31], v[39:40], v[22:23], v[30:31]
	v_mul_f64 v[38:39], v[8:9], v[4:5]
	v_fma_f64 v[30:31], v[41:42], v[16:17], v[30:31]
	v_mul_f64 v[40:41], v[2:3], v[28:29]
	v_mul_f64 v[32:33], v[4:5], v[30:31]
	s_waitcnt vmcnt(4)
	v_mul_f64 v[36:37], v[58:59], v[34:35]
	v_fma_f64 v[34:35], v[4:5], v[30:31], -v[34:35]
	s_waitcnt vmcnt(2)
	v_mul_f64 v[50:51], v[60:61], v[2:3]
	v_mul_f64 v[48:49], v[58:59], v[28:29]
	v_fma_f64 v[32:33], v[58:59], v[32:33], -v[36:37]
	v_mul_f64 v[36:37], v[8:9], v[6:7]
	v_fma_f64 v[50:51], v[58:59], v[4:5], -v[50:51]
	v_fma_f64 v[48:49], v[60:61], v[8:9], -v[48:49]
	v_fma_f64 v[32:33], v[60:61], v[36:37], v[32:33]
	v_mul_f64 v[36:37], v[2:3], v[30:31]
	v_fma_f64 v[32:33], -v[60:61], v[36:37], v[32:33]
	v_fma_f64 v[36:37], v[8:9], v[6:7], -v[36:37]
	s_waitcnt vmcnt(0)
	v_fma_f64 v[32:33], -v[62:63], v[38:39], v[32:33]
	v_fma_f64 v[38:39], v[2:3], v[28:29], -v[38:39]
	v_fma_f64 v[106:107], v[62:63], v[40:41], v[32:33]
	v_add_f64 v[32:33], v[106:107], s[8:9]
	v_div_scale_f64 v[40:41], null, v[32:33], v[32:33], 1.0
	v_rcp_f64_e32 v[42:43], v[40:41]
	v_fma_f64 v[44:45], -v[40:41], v[42:43], 1.0
	v_fma_f64 v[42:43], v[42:43], v[44:45], v[42:43]
	v_fma_f64 v[44:45], -v[40:41], v[42:43], 1.0
	v_fma_f64 v[42:43], v[42:43], v[44:45], v[42:43]
	v_div_scale_f64 v[44:45], vcc_lo, 1.0, v[32:33], 1.0
	v_mul_f64 v[46:47], v[44:45], v[42:43]
	v_fma_f64 v[40:41], -v[40:41], v[46:47], v[44:45]
	v_mul_f64 v[44:45], v[62:63], v[8:9]
	v_div_fmas_f64 v[40:41], v[40:41], v[42:43], v[46:47]
	v_mul_f64 v[42:43], v[62:63], v[4:5]
	v_mul_f64 v[46:47], v[58:59], v[6:7]
	v_fma_f64 v[44:45], v[58:59], v[30:31], -v[44:45]
	v_div_fixup_f64 v[32:33], v[40:41], v[32:33], 1.0
	v_mul_f64 v[40:41], v[60:61], v[30:31]
	v_fma_f64 v[42:43], v[60:61], v[6:7], -v[42:43]
	v_fma_f64 v[46:47], v[62:63], v[2:3], -v[46:47]
	v_mul_f64 v[34:35], v[34:35], v[32:33]
	v_fma_f64 v[40:41], v[62:63], v[28:29], -v[40:41]
	v_mul_f64 v[42:43], v[42:43], v[32:33]
	v_mul_f64 v[46:47], v[46:47], v[32:33]
	;; [unrolled: 1-line block ×9, first 2 shown]
	v_add_f64 v[38:39], |v[106:107]|, s[8:9]
	v_fma_f64 v[54:55], v[14:15], v[40:41], v[52:53]
	v_fma_f64 v[108:109], v[34:35], 0, v[54:55]
	v_mul_f64 v[54:55], v[46:47], 0
	v_fma_f64 v[56:57], v[14:15], v[44:45], v[54:55]
	v_fma_f64 v[128:129], v[36:37], 0, v[56:57]
	v_mul_f64 v[56:57], v[50:51], 0
	v_fma_f64 v[14:15], v[14:15], v[48:49], v[56:57]
	v_fma_f64 v[126:127], v[32:33], 0, v[14:15]
	v_fma_f64 v[14:15], v[24:25], v[40:41], v[52:53]
	v_fma_f64 v[112:113], v[34:35], 0, v[14:15]
	v_fma_f64 v[14:15], v[24:25], v[44:45], v[54:55]
	v_fma_f64 v[124:125], v[36:37], 0, v[14:15]
	v_fma_f64 v[14:15], v[24:25], v[48:49], v[56:57]
	v_fma_f64 v[122:123], v[32:33], 0, v[14:15]
	v_fma_f64 v[14:15], v[20:21], v[40:41], v[52:53]
	v_fma_f64 v[114:115], v[34:35], 0, v[14:15]
	v_fma_f64 v[14:15], v[20:21], v[44:45], v[54:55]
	v_fma_f64 v[118:119], v[36:37], 0, v[14:15]
	v_fma_f64 v[14:15], v[20:21], v[48:49], v[56:57]
	v_fma_f64 v[116:117], v[32:33], 0, v[14:15]
	v_fma_f64 v[14:15], v[18:19], v[40:41], v[52:53]
	v_fma_f64 v[98:99], v[34:35], 0, v[14:15]
	v_fma_f64 v[14:15], v[18:19], v[44:45], v[54:55]
	v_fma_f64 v[104:105], v[36:37], 0, v[14:15]
	v_fma_f64 v[14:15], v[18:19], v[48:49], v[56:57]
	v_fma_f64 v[100:101], v[32:33], 0, v[14:15]
	v_mul_f64 v[14:15], v[40:41], 0
	v_fma_f64 v[18:19], v[12:13], v[42:43], v[14:15]
	v_fma_f64 v[246:247], v[34:35], 0, v[18:19]
	v_mul_f64 v[18:19], v[44:45], 0
	v_fma_f64 v[20:21], v[12:13], v[46:47], v[18:19]
	v_fma_f64 v[94:95], v[36:37], 0, v[20:21]
	;; [unrolled: 3-line block ×3, first 2 shown]
	v_fma_f64 v[12:13], v[26:27], v[42:43], v[14:15]
	v_fma_f64 v[180:181], v[34:35], 0, v[12:13]
	v_fma_f64 v[12:13], v[26:27], v[46:47], v[18:19]
	v_fma_f64 v[222:223], v[36:37], 0, v[12:13]
	v_fma_f64 v[12:13], v[26:27], v[50:51], v[20:21]
	v_fma_f64 v[200:201], v[32:33], 0, v[12:13]
	v_fma_f64 v[12:13], v[22:23], v[42:43], v[14:15]
	v_fma_f64 v[132:133], v[34:35], 0, v[12:13]
	v_fma_f64 v[12:13], v[22:23], v[46:47], v[18:19]
	v_fma_f64 v[162:163], v[36:37], 0, v[12:13]
	v_fma_f64 v[12:13], v[22:23], v[50:51], v[20:21]
	v_mul_f64 v[22:23], v[74:75], v[76:77]
	v_fma_f64 v[146:147], v[32:33], 0, v[12:13]
	v_fma_f64 v[12:13], v[16:17], v[42:43], v[14:15]
	;; [unrolled: 1-line block ×10, first 2 shown]
	s_clause 0x1
	buffer_load_dword v18, off, s[0:3], 0 offset:1480
	buffer_load_dword v19, off, s[0:3], 0 offset:1484
	v_fma_f64 v[92:93], v[22:23], v[32:33], v[16:17]
	v_fma_f64 v[88:89], v[22:23], v[34:35], v[12:13]
	;; [unrolled: 1-line block ×3, first 2 shown]
	s_waitcnt vmcnt(0)
	v_fma_f64 v[82:83], v[18:19], v[34:35], v[12:13]
	v_fma_f64 v[86:87], v[18:19], v[36:37], v[14:15]
	;; [unrolled: 1-line block ×3, first 2 shown]
	s_clause 0x1
	buffer_load_dword v18, off, s[0:3], 0 offset:1496
	buffer_load_dword v19, off, s[0:3], 0 offset:1500
	s_waitcnt vmcnt(0)
	v_fma_f64 v[90:91], v[18:19], v[34:35], v[12:13]
	v_fma_f64 v[78:79], v[18:19], v[36:37], v[14:15]
	;; [unrolled: 1-line block ×3, first 2 shown]
	s_clause 0x1
	buffer_load_dword v18, off, s[0:3], 0 offset:1488
	buffer_load_dword v19, off, s[0:3], 0 offset:1492
	s_waitcnt vmcnt(0)
	v_fma_f64 v[68:69], v[18:19], v[34:35], v[12:13]
	s_clause 0x1
	buffer_load_dword v12, off, s[0:3], 0 offset:1520
	buffer_load_dword v13, off, s[0:3], 0 offset:1524
	v_fma_f64 v[72:73], v[18:19], v[36:37], v[14:15]
	v_fma_f64 v[70:71], v[18:19], v[32:33], v[16:17]
	s_waitcnt vmcnt(0)
	v_mul_f64 v[252:253], v[12:13], v[10:11]
	v_div_scale_f64 v[10:11], null, v[38:39], v[38:39], 1.0
	v_mul_f64 v[252:253], v[252:253], |v[106:107]|
	v_rcp_f64_e32 v[12:13], v[10:11]
	v_mul_f64 v[106:107], v[128:129], v[128:129]
	v_fma_f64 v[106:107], v[108:109], v[108:109], v[106:107]
	v_fma_f64 v[14:15], -v[10:11], v[12:13], 1.0
	v_fma_f64 v[106:107], v[126:127], v[126:127], v[106:107]
	v_fma_f64 v[12:13], v[12:13], v[14:15], v[12:13]
	v_fma_f64 v[14:15], -v[10:11], v[12:13], 1.0
	v_fma_f64 v[12:13], v[12:13], v[14:15], v[12:13]
	v_div_scale_f64 v[14:15], vcc_lo, 1.0, v[38:39], 1.0
	v_mul_f64 v[16:17], v[14:15], v[12:13]
	v_fma_f64 v[10:11], -v[10:11], v[16:17], v[14:15]
	v_div_fmas_f64 v[10:11], v[10:11], v[12:13], v[16:17]
	s_and_b32 vcc_lo, exec_lo, s4
	v_div_fixup_f64 v[10:11], v[10:11], v[38:39], 1.0
	v_mul_f64 v[250:251], v[2:3], v[10:11]
	v_mul_f64 v[2:3], v[8:9], v[10:11]
	;; [unrolled: 1-line block ×10, first 2 shown]
	v_mul_f64 v[10:11], v[2:3], -v[76:77]
	v_mul_f64 v[144:145], v[2:3], -s[14:15]
	v_mul_f64 v[154:155], s[14:15], v[2:3]
	v_mul_f64 v[140:141], v[4:5], -v[76:77]
	v_mul_f64 v[148:149], v[4:5], -s[14:15]
	v_mul_f64 v[50:51], v[76:77], v[4:5]
	v_mul_f64 v[156:157], s[14:15], v[4:5]
	v_mul_f64 v[142:143], v[6:7], -v[76:77]
	v_mul_f64 v[150:151], v[6:7], -s[14:15]
	v_mul_f64 v[152:153], v[76:77], v[6:7]
	v_mul_f64 v[158:159], s[14:15], v[6:7]
	v_fma_f64 v[12:13], v[2:3], -v[76:77], v[8:9]
	v_fma_f64 v[18:19], v[76:77], v[2:3], v[8:9]
	v_fma_f64 v[58:59], v[0:1], v[254:255], v[12:13]
	v_mul_f64 v[12:13], v[130:131], 0
	v_fma_f64 v[42:43], s[16:17], v[254:255], v[18:19]
	v_fma_f64 v[14:15], v[4:5], -v[76:77], v[12:13]
	v_fma_f64 v[18:19], v[76:77], v[4:5], v[12:13]
	v_fma_f64 v[66:67], v[0:1], v[134:135], v[14:15]
	v_mul_f64 v[14:15], v[136:137], 0
	v_fma_f64 v[46:47], s[16:17], v[134:135], v[18:19]
	v_fma_f64 v[16:17], v[6:7], -v[76:77], v[14:15]
	v_fma_f64 v[18:19], v[76:77], v[6:7], v[14:15]
	v_fma_f64 v[62:63], v[0:1], v[138:139], v[16:17]
	v_fma_f64 v[16:17], v[2:3], -s[14:15], v[8:9]
	v_fma_f64 v[8:9], s[14:15], v[2:3], v[8:9]
	v_fma_f64 v[44:45], s[16:17], v[138:139], v[18:19]
	v_fma_f64 v[48:49], -v[254:255], v[0:1], v[16:17]
	v_fma_f64 v[16:17], v[4:5], -s[14:15], v[12:13]
	v_fma_f64 v[36:37], -v[254:255], s[16:17], v[8:9]
	v_fma_f64 v[8:9], s[14:15], v[4:5], v[12:13]
	v_mul_f64 v[4:5], v[4:5], 0
	v_fma_f64 v[54:55], -v[134:135], v[0:1], v[16:17]
	v_fma_f64 v[16:17], v[6:7], -s[14:15], v[14:15]
	v_fma_f64 v[40:41], -v[134:135], s[16:17], v[8:9]
	v_fma_f64 v[8:9], s[14:15], v[6:7], v[14:15]
	v_mul_f64 v[6:7], v[6:7], 0
	v_fma_f64 v[52:53], -v[138:139], v[0:1], v[16:17]
	v_mul_f64 v[16:17], v[76:77], v[2:3]
	v_mul_f64 v[2:3], v[2:3], 0
	v_fma_f64 v[38:39], -v[138:139], s[16:17], v[8:9]
	v_fma_f64 v[8:9], v[74:75], v[250:251], v[2:3]
	v_fma_f64 v[30:31], v[254:255], -v[0:1], v[8:9]
	v_fma_f64 v[8:9], v[74:75], v[130:131], v[4:5]
	v_fma_f64 v[34:35], v[134:135], -v[0:1], v[8:9]
	;; [unrolled: 2-line block ×3, first 2 shown]
	v_fma_f64 v[8:9], s[12:13], v[250:251], v[2:3]
	v_fma_f64 v[24:25], v[0:1], v[254:255], v[8:9]
	v_fma_f64 v[8:9], s[12:13], v[130:131], v[4:5]
	v_fma_f64 v[28:29], v[0:1], v[134:135], v[8:9]
	v_fma_f64 v[8:9], s[12:13], v[136:137], v[6:7]
	v_fma_f64 v[26:27], v[0:1], v[138:139], v[8:9]
	v_fma_f64 v[0:1], -v[250:251], v[74:75], v[2:3]
	v_fma_f64 v[18:19], v[254:255], -s[16:17], v[0:1]
	v_fma_f64 v[0:1], -v[130:131], v[74:75], v[4:5]
	v_fma_f64 v[22:23], v[134:135], -s[16:17], v[0:1]
	;; [unrolled: 2-line block ×3, first 2 shown]
	v_fma_f64 v[0:1], -v[250:251], s[12:13], v[2:3]
	v_fma_f64 v[56:57], s[16:17], v[254:255], v[0:1]
	v_fma_f64 v[0:1], -v[130:131], s[12:13], v[4:5]
	v_fma_f64 v[64:65], s[16:17], v[134:135], v[0:1]
	;; [unrolled: 2-line block ×3, first 2 shown]
	v_fma_f64 v[0:1], v[250:251], -v[74:75], v[16:17]
	s_mov_b64 s[16:17], s[10:11]
	v_fma_f64 v[14:15], v[254:255], 0, v[0:1]
	v_fma_f64 v[0:1], v[130:131], -v[74:75], v[50:51]
	v_fma_f64 v[50:51], v[134:135], 0, v[0:1]
	v_fma_f64 v[0:1], v[136:137], -v[74:75], v[152:153]
	;; [unrolled: 2-line block ×5, first 2 shown]
	v_fma_f64 v[10:11], v[138:139], 0, v[0:1]
	v_fma_f64 v[0:1], v[74:75], v[250:251], v[154:155]
	;; [unrolled: 1-line block ×13, first 2 shown]
	s_clause 0x1
	buffer_load_dword v130, off, s[0:3], 0 offset:1184
	buffer_load_dword v131, off, s[0:3], 0 offset:1188
	s_waitcnt vmcnt(0)
	v_fma_f64 v[106:107], v[252:253], v[106:107], v[130:131]
	v_mul_f64 v[130:131], v[128:129], v[124:125]
	buffer_store_dword v107, off, s[0:3], 0 offset:20
	buffer_store_dword v106, off, s[0:3], 0 offset:16
	v_fma_f64 v[130:131], v[108:109], v[112:113], v[130:131]
	v_fma_f64 v[130:131], v[126:127], v[122:123], v[130:131]
	v_fma_f64 v[244:245], v[252:253], v[130:131], v[244:245]
	v_mul_f64 v[130:131], v[128:129], v[118:119]
	buffer_store_dword v245, off, s[0:3], 0 offset:28
	buffer_store_dword v244, off, s[0:3], 0 offset:24
	buffer_store_dword v245, off, s[0:3], 0 offset:116
	buffer_store_dword v244, off, s[0:3], 0 offset:112
	v_fma_f64 v[130:131], v[108:109], v[114:115], v[130:131]
	v_fma_f64 v[130:131], v[126:127], v[116:117], v[130:131]
	v_fma_f64 v[242:243], v[252:253], v[130:131], v[242:243]
	v_mul_f64 v[130:131], v[128:129], v[104:105]
	buffer_store_dword v243, off, s[0:3], 0 offset:36
	buffer_store_dword v242, off, s[0:3], 0 offset:32
	;; [unrolled: 8-line block ×8, first 2 shown]
	buffer_store_dword v231, off, s[0:3], 0 offset:788
	buffer_store_dword v230, off, s[0:3], 0 offset:784
	v_fma_f64 v[130:131], v[108:109], v[82:83], v[130:131]
	v_fma_f64 v[130:131], v[126:127], v[84:85], v[130:131]
	;; [unrolled: 1-line block ×3, first 2 shown]
	v_mul_f64 v[130:131], v[128:129], v[78:79]
	v_mul_f64 v[128:129], v[128:129], v[72:73]
	buffer_store_dword v229, off, s[0:3], 0 offset:92
	buffer_store_dword v228, off, s[0:3], 0 offset:88
	;; [unrolled: 1-line block ×4, first 2 shown]
	v_fma_f64 v[130:131], v[108:109], v[90:91], v[130:131]
	v_fma_f64 v[108:109], v[108:109], v[68:69], v[128:129]
	;; [unrolled: 1-line block ×6, first 2 shown]
	buffer_store_dword v226, off, s[0:3], 0 offset:96
	buffer_store_dword v227, off, s[0:3], 0 offset:100
	;; [unrolled: 1-line block ×8, first 2 shown]
	s_clause 0x1
	buffer_load_dword v126, off, s[0:3], 0 offset:1176
	buffer_load_dword v127, off, s[0:3], 0 offset:1180
	v_mul_f64 v[108:109], v[124:125], v[124:125]
	v_fma_f64 v[108:109], v[112:113], v[112:113], v[108:109]
	v_fma_f64 v[108:109], v[122:123], v[122:123], v[108:109]
	s_waitcnt vmcnt(0)
	v_fma_f64 v[108:109], v[252:253], v[108:109], v[126:127]
	v_mul_f64 v[126:127], v[124:125], v[118:119]
	buffer_store_dword v108, off, s[0:3], 0 offset:120
	buffer_store_dword v109, off, s[0:3], 0 offset:124
	v_fma_f64 v[126:127], v[112:113], v[114:115], v[126:127]
	v_fma_f64 v[126:127], v[122:123], v[116:117], v[126:127]
	v_fma_f64 v[220:221], v[252:253], v[126:127], v[220:221]
	v_mul_f64 v[126:127], v[124:125], v[104:105]
	buffer_store_dword v220, off, s[0:3], 0 offset:128
	buffer_store_dword v221, off, s[0:3], 0 offset:132
	buffer_store_dword v220, off, s[0:3], 0 offset:216
	buffer_store_dword v221, off, s[0:3], 0 offset:220
	v_fma_f64 v[126:127], v[112:113], v[98:99], v[126:127]
	v_fma_f64 v[126:127], v[122:123], v[100:101], v[126:127]
	v_fma_f64 v[218:219], v[252:253], v[126:127], v[218:219]
	v_mul_f64 v[126:127], v[124:125], v[94:95]
	buffer_store_dword v219, off, s[0:3], 0 offset:140
	buffer_store_dword v218, off, s[0:3], 0 offset:136
	;; [unrolled: 8-line block ×7, first 2 shown]
	buffer_store_dword v209, off, s[0:3], 0 offset:796
	buffer_store_dword v208, off, s[0:3], 0 offset:792
	v_fma_f64 v[126:127], v[112:113], v[82:83], v[126:127]
	v_fma_f64 v[126:127], v[122:123], v[84:85], v[126:127]
	;; [unrolled: 1-line block ×3, first 2 shown]
	v_mul_f64 v[126:127], v[124:125], v[78:79]
	v_mul_f64 v[124:125], v[124:125], v[72:73]
	buffer_store_dword v207, off, s[0:3], 0 offset:188
	buffer_store_dword v206, off, s[0:3], 0 offset:184
	;; [unrolled: 1-line block ×4, first 2 shown]
	v_fma_f64 v[126:127], v[112:113], v[90:91], v[126:127]
	v_fma_f64 v[112:113], v[112:113], v[68:69], v[124:125]
	;; [unrolled: 1-line block ×6, first 2 shown]
	buffer_store_dword v205, off, s[0:3], 0 offset:196
	buffer_store_dword v204, off, s[0:3], 0 offset:192
	;; [unrolled: 1-line block ×8, first 2 shown]
	s_clause 0x1
	buffer_load_dword v122, off, s[0:3], 0 offset:1168
	buffer_load_dword v123, off, s[0:3], 0 offset:1172
	v_mul_f64 v[112:113], v[118:119], v[118:119]
	v_fma_f64 v[112:113], v[114:115], v[114:115], v[112:113]
	v_fma_f64 v[112:113], v[116:117], v[116:117], v[112:113]
	s_waitcnt vmcnt(0)
	v_fma_f64 v[112:113], v[252:253], v[112:113], v[122:123]
	v_mul_f64 v[122:123], v[118:119], v[104:105]
	buffer_store_dword v113, off, s[0:3], 0 offset:228
	buffer_store_dword v112, off, s[0:3], 0 offset:224
	v_fma_f64 v[122:123], v[114:115], v[98:99], v[122:123]
	v_fma_f64 v[122:123], v[116:117], v[100:101], v[122:123]
	v_fma_f64 v[198:199], v[252:253], v[122:123], v[198:199]
	v_mul_f64 v[122:123], v[118:119], v[94:95]
	buffer_store_dword v199, off, s[0:3], 0 offset:236
	buffer_store_dword v198, off, s[0:3], 0 offset:232
	buffer_store_dword v199, off, s[0:3], 0 offset:324
	buffer_store_dword v198, off, s[0:3], 0 offset:320
	v_fma_f64 v[122:123], v[114:115], v[246:247], v[122:123]
	v_fma_f64 v[122:123], v[116:117], v[248:249], v[122:123]
	v_fma_f64 v[196:197], v[252:253], v[122:123], v[196:197]
	v_mul_f64 v[122:123], v[118:119], v[222:223]
	buffer_store_dword v197, off, s[0:3], 0 offset:244
	buffer_store_dword v196, off, s[0:3], 0 offset:240
	;; [unrolled: 8-line block ×6, first 2 shown]
	buffer_store_dword v189, off, s[0:3], 0 offset:804
	buffer_store_dword v188, off, s[0:3], 0 offset:800
	v_fma_f64 v[122:123], v[114:115], v[82:83], v[122:123]
	v_fma_f64 v[122:123], v[116:117], v[84:85], v[122:123]
	;; [unrolled: 1-line block ×3, first 2 shown]
	v_mul_f64 v[122:123], v[118:119], v[78:79]
	v_mul_f64 v[118:119], v[118:119], v[72:73]
	buffer_store_dword v187, off, s[0:3], 0 offset:284
	buffer_store_dword v186, off, s[0:3], 0 offset:280
	buffer_store_dword v187, off, s[0:3], 0 offset:900
	buffer_store_dword v186, off, s[0:3], 0 offset:896
	v_fma_f64 v[122:123], v[114:115], v[90:91], v[122:123]
	v_fma_f64 v[114:115], v[114:115], v[68:69], v[118:119]
	;; [unrolled: 1-line block ×6, first 2 shown]
	buffer_store_dword v185, off, s[0:3], 0 offset:292
	buffer_store_dword v184, off, s[0:3], 0 offset:288
	;; [unrolled: 1-line block ×8, first 2 shown]
	s_clause 0x1
	buffer_load_dword v116, off, s[0:3], 0 offset:1472
	buffer_load_dword v117, off, s[0:3], 0 offset:1476
	v_mul_f64 v[114:115], v[104:105], v[104:105]
	v_fma_f64 v[114:115], v[98:99], v[98:99], v[114:115]
	v_fma_f64 v[114:115], v[100:101], v[100:101], v[114:115]
	s_waitcnt vmcnt(0)
	v_fma_f64 v[114:115], v[252:253], v[114:115], v[116:117]
	v_mul_f64 v[116:117], v[104:105], v[94:95]
	buffer_store_dword v115, off, s[0:3], 0 offset:332
	buffer_store_dword v114, off, s[0:3], 0 offset:328
	v_fma_f64 v[116:117], v[98:99], v[246:247], v[116:117]
	v_fma_f64 v[116:117], v[100:101], v[248:249], v[116:117]
	v_fma_f64 v[178:179], v[252:253], v[116:117], v[178:179]
	v_mul_f64 v[116:117], v[104:105], v[222:223]
	buffer_store_dword v179, off, s[0:3], 0 offset:340
	buffer_store_dword v178, off, s[0:3], 0 offset:336
	buffer_store_dword v179, off, s[0:3], 0 offset:428
	buffer_store_dword v178, off, s[0:3], 0 offset:424
	v_fma_f64 v[116:117], v[98:99], v[180:181], v[116:117]
	v_fma_f64 v[116:117], v[100:101], v[200:201], v[116:117]
	v_fma_f64 v[176:177], v[252:253], v[116:117], v[176:177]
	v_mul_f64 v[116:117], v[104:105], v[162:163]
	buffer_store_dword v177, off, s[0:3], 0 offset:348
	buffer_store_dword v176, off, s[0:3], 0 offset:344
	;; [unrolled: 8-line block ×5, first 2 shown]
	buffer_store_dword v171, off, s[0:3], 0 offset:812
	buffer_store_dword v170, off, s[0:3], 0 offset:808
	v_fma_f64 v[116:117], v[98:99], v[82:83], v[116:117]
	v_fma_f64 v[116:117], v[100:101], v[84:85], v[116:117]
	;; [unrolled: 1-line block ×3, first 2 shown]
	v_mul_f64 v[116:117], v[104:105], v[78:79]
	v_mul_f64 v[104:105], v[104:105], v[72:73]
	buffer_store_dword v169, off, s[0:3], 0 offset:380
	buffer_store_dword v168, off, s[0:3], 0 offset:376
	buffer_store_dword v169, off, s[0:3], 0 offset:908
	buffer_store_dword v168, off, s[0:3], 0 offset:904
	v_fma_f64 v[116:117], v[98:99], v[90:91], v[116:117]
	v_fma_f64 v[98:99], v[98:99], v[68:69], v[104:105]
	;; [unrolled: 1-line block ×4, first 2 shown]
	v_mul_f64 v[100:101], v[94:95], v[94:95]
	v_fma_f64 v[166:167], v[252:253], v[116:117], v[166:167]
	v_fma_f64 v[98:99], v[252:253], v[98:99], v[164:165]
	buffer_store_dword v167, off, s[0:3], 0 offset:388
	buffer_store_dword v166, off, s[0:3], 0 offset:384
	;; [unrolled: 1-line block ×8, first 2 shown]
	s_clause 0x1
	buffer_load_dword v104, off, s[0:3], 0 offset:1416
	buffer_load_dword v105, off, s[0:3], 0 offset:1420
	v_fma_f64 v[100:101], v[246:247], v[246:247], v[100:101]
	v_mul_f64 v[116:117], v[94:95], v[162:163]
	v_fma_f64 v[100:101], v[248:249], v[248:249], v[100:101]
	v_fma_f64 v[116:117], v[246:247], v[132:133], v[116:117]
	;; [unrolled: 1-line block ×3, first 2 shown]
	s_waitcnt vmcnt(0)
	v_fma_f64 v[100:101], v[252:253], v[100:101], v[104:105]
	v_mul_f64 v[104:105], v[94:95], v[222:223]
	buffer_store_dword v101, off, s[0:3], 0 offset:436
	buffer_store_dword v100, off, s[0:3], 0 offset:432
	v_fma_f64 v[104:105], v[246:247], v[180:181], v[104:105]
	v_fma_f64 v[104:105], v[248:249], v[200:201], v[104:105]
	;; [unrolled: 1-line block ×3, first 2 shown]
	buffer_store_dword v105, off, s[0:3], 0 offset:444
	buffer_store_dword v104, off, s[0:3], 0 offset:440
	buffer_store_dword v105, off, s[0:3], 0 offset:532
	buffer_store_dword v104, off, s[0:3], 0 offset:528
	s_clause 0x1
	buffer_load_dword v118, off, s[0:3], 0 offset:1400
	buffer_load_dword v119, off, s[0:3], 0 offset:1404
	s_waitcnt vmcnt(0)
	v_fma_f64 v[158:159], v[252:253], v[116:117], v[118:119]
	buffer_store_dword v159, off, s[0:3], 0 offset:452
	buffer_store_dword v158, off, s[0:3], 0 offset:448
	buffer_store_dword v159, off, s[0:3], 0 offset:628
	buffer_store_dword v158, off, s[0:3], 0 offset:624
	s_clause 0x1
	buffer_load_dword v118, off, s[0:3], 0 offset:1464
	buffer_load_dword v119, off, s[0:3], 0 offset:1468
	v_mul_f64 v[116:117], v[94:95], v[120:121]
	v_fma_f64 v[116:117], v[246:247], v[102:103], v[116:117]
	v_fma_f64 v[116:117], v[248:249], v[110:111], v[116:117]
	s_waitcnt vmcnt(0)
	v_fma_f64 v[156:157], v[252:253], v[116:117], v[118:119]
	buffer_store_dword v157, off, s[0:3], 0 offset:460
	buffer_store_dword v156, off, s[0:3], 0 offset:456
	buffer_store_dword v157, off, s[0:3], 0 offset:724
	buffer_store_dword v156, off, s[0:3], 0 offset:720
	s_clause 0x1
	buffer_load_dword v118, off, s[0:3], 0 offset:1456
	buffer_load_dword v119, off, s[0:3], 0 offset:1460
	v_mul_f64 v[116:117], v[94:95], v[96:97]
	v_fma_f64 v[116:117], v[246:247], v[88:89], v[116:117]
	v_fma_f64 v[116:117], v[248:249], v[92:93], v[116:117]
	s_waitcnt vmcnt(0)
	v_fma_f64 v[154:155], v[252:253], v[116:117], v[118:119]
	buffer_store_dword v155, off, s[0:3], 0 offset:468
	buffer_store_dword v154, off, s[0:3], 0 offset:464
	buffer_store_dword v155, off, s[0:3], 0 offset:820
	buffer_store_dword v154, off, s[0:3], 0 offset:816
	s_clause 0x1
	buffer_load_dword v118, off, s[0:3], 0 offset:1448
	buffer_load_dword v119, off, s[0:3], 0 offset:1452
	v_mul_f64 v[116:117], v[94:95], v[86:87]
	v_fma_f64 v[116:117], v[246:247], v[82:83], v[116:117]
	v_fma_f64 v[116:117], v[248:249], v[84:85], v[116:117]
	s_waitcnt vmcnt(0)
	v_fma_f64 v[152:153], v[252:253], v[116:117], v[118:119]
	buffer_store_dword v153, off, s[0:3], 0 offset:476
	buffer_store_dword v152, off, s[0:3], 0 offset:472
	;; [unrolled: 1-line block ×4, first 2 shown]
	s_clause 0x1
	buffer_load_dword v118, off, s[0:3], 0 offset:1440
	buffer_load_dword v119, off, s[0:3], 0 offset:1444
	v_mul_f64 v[116:117], v[94:95], v[78:79]
	v_mul_f64 v[94:95], v[94:95], v[72:73]
	v_fma_f64 v[116:117], v[246:247], v[90:91], v[116:117]
	v_fma_f64 v[94:95], v[246:247], v[68:69], v[94:95]
	;; [unrolled: 1-line block ×4, first 2 shown]
	s_waitcnt vmcnt(0)
	v_fma_f64 v[150:151], v[252:253], v[116:117], v[118:119]
	buffer_store_dword v151, off, s[0:3], 0 offset:484
	buffer_store_dword v150, off, s[0:3], 0 offset:480
	;; [unrolled: 1-line block ×4, first 2 shown]
	s_clause 0x1
	buffer_load_dword v116, off, s[0:3], 0 offset:1432
	buffer_load_dword v117, off, s[0:3], 0 offset:1436
	s_waitcnt vmcnt(0)
	v_fma_f64 v[94:95], v[252:253], v[94:95], v[116:117]
	buffer_store_dword v95, off, s[0:3], 0 offset:492
	buffer_store_dword v94, off, s[0:3], 0 offset:488
	;; [unrolled: 1-line block ×4, first 2 shown]
	s_clause 0x1
	buffer_load_dword v118, off, s[0:3], 0 offset:1424
	buffer_load_dword v119, off, s[0:3], 0 offset:1428
	v_mul_f64 v[116:117], v[222:223], v[222:223]
	v_fma_f64 v[116:117], v[180:181], v[180:181], v[116:117]
	v_fma_f64 v[116:117], v[200:201], v[200:201], v[116:117]
	s_waitcnt vmcnt(0)
	v_fma_f64 v[246:247], v[252:253], v[116:117], v[118:119]
	buffer_store_dword v247, off, s[0:3], 0 offset:540
	buffer_store_dword v246, off, s[0:3], 0 offset:536
	s_clause 0x1
	buffer_load_dword v118, off, s[0:3], 0 offset:1344
	buffer_load_dword v119, off, s[0:3], 0 offset:1348
	v_mul_f64 v[116:117], v[222:223], v[162:163]
	v_fma_f64 v[116:117], v[180:181], v[132:133], v[116:117]
	v_fma_f64 v[116:117], v[200:201], v[146:147], v[116:117]
	s_waitcnt vmcnt(0)
	v_fma_f64 v[144:145], v[252:253], v[116:117], v[118:119]
	buffer_store_dword v145, off, s[0:3], 0 offset:548
	buffer_store_dword v144, off, s[0:3], 0 offset:544
	buffer_store_dword v145, off, s[0:3], 0 offset:636
	buffer_store_dword v144, off, s[0:3], 0 offset:632
	s_clause 0x1
	buffer_load_dword v118, off, s[0:3], 0 offset:1408
	buffer_load_dword v119, off, s[0:3], 0 offset:1412
	v_mul_f64 v[116:117], v[222:223], v[120:121]
	v_fma_f64 v[116:117], v[180:181], v[102:103], v[116:117]
	v_fma_f64 v[116:117], v[200:201], v[110:111], v[116:117]
	s_waitcnt vmcnt(0)
	v_fma_f64 v[142:143], v[252:253], v[116:117], v[118:119]
	buffer_store_dword v143, off, s[0:3], 0 offset:556
	buffer_store_dword v142, off, s[0:3], 0 offset:552
	;; [unrolled: 12-line block ×7, first 2 shown]
	s_clause 0x1
	buffer_load_dword v118, off, s[0:3], 0 offset:1352
	buffer_load_dword v119, off, s[0:3], 0 offset:1356
	v_mul_f64 v[116:117], v[162:163], v[120:121]
	v_fma_f64 v[116:117], v[132:133], v[102:103], v[116:117]
	v_fma_f64 v[116:117], v[146:147], v[110:111], v[116:117]
	s_waitcnt vmcnt(0)
	v_fma_f64 v[130:131], v[252:253], v[116:117], v[118:119]
	buffer_store_dword v131, off, s[0:3], 0 offset:652
	buffer_store_dword v130, off, s[0:3], 0 offset:648
	buffer_store_dword v131, off, s[0:3], 0 offset:740
	buffer_store_dword v130, off, s[0:3], 0 offset:736
	s_clause 0x1
	buffer_load_dword v118, off, s[0:3], 0 offset:1336
	buffer_load_dword v119, off, s[0:3], 0 offset:1340
	v_mul_f64 v[116:117], v[162:163], v[96:97]
	v_fma_f64 v[116:117], v[132:133], v[88:89], v[116:117]
	v_fma_f64 v[116:117], v[146:147], v[92:93], v[116:117]
	s_waitcnt vmcnt(0)
	v_fma_f64 v[128:129], v[252:253], v[116:117], v[118:119]
	buffer_store_dword v129, off, s[0:3], 0 offset:660
	buffer_store_dword v128, off, s[0:3], 0 offset:656
	buffer_store_dword v129, off, s[0:3], 0 offset:836
	buffer_store_dword v128, off, s[0:3], 0 offset:832
	;; [unrolled: 12-line block ×5, first 2 shown]
	s_clause 0x1
	buffer_load_dword v118, off, s[0:3], 0 offset:1304
	buffer_load_dword v119, off, s[0:3], 0 offset:1308
	v_mul_f64 v[116:117], v[120:121], v[120:121]
	v_fma_f64 v[116:117], v[102:103], v[102:103], v[116:117]
	v_fma_f64 v[116:117], v[110:111], v[110:111], v[116:117]
	s_waitcnt vmcnt(0)
	v_fma_f64 v[132:133], v[252:253], v[116:117], v[118:119]
	buffer_store_dword v133, off, s[0:3], 0 offset:748
	buffer_store_dword v132, off, s[0:3], 0 offset:744
	s_clause 0x1
	buffer_load_dword v118, off, s[0:3], 0 offset:1296
	buffer_load_dword v119, off, s[0:3], 0 offset:1300
	v_mul_f64 v[116:117], v[120:121], v[96:97]
	v_fma_f64 v[116:117], v[102:103], v[88:89], v[116:117]
	v_fma_f64 v[116:117], v[110:111], v[92:93], v[116:117]
	s_waitcnt vmcnt(0)
	v_fma_f64 v[118:119], v[252:253], v[116:117], v[118:119]
	buffer_store_dword v119, off, s[0:3], 0 offset:756
	buffer_store_dword v118, off, s[0:3], 0 offset:752
	;; [unrolled: 1-line block ×4, first 2 shown]
	s_clause 0x1
	buffer_load_dword v146, off, s[0:3], 0 offset:1288
	buffer_load_dword v147, off, s[0:3], 0 offset:1292
	v_mul_f64 v[116:117], v[120:121], v[86:87]
	v_fma_f64 v[116:117], v[102:103], v[82:83], v[116:117]
	v_fma_f64 v[116:117], v[110:111], v[84:85], v[116:117]
	s_waitcnt vmcnt(0)
	v_fma_f64 v[116:117], v[252:253], v[116:117], v[146:147]
	buffer_store_dword v117, off, s[0:3], 0 offset:764
	buffer_store_dword v116, off, s[0:3], 0 offset:760
	;; [unrolled: 1-line block ×4, first 2 shown]
	s_clause 0x1
	buffer_load_dword v148, off, s[0:3], 0 offset:1248
	buffer_load_dword v149, off, s[0:3], 0 offset:1252
	v_mul_f64 v[146:147], v[120:121], v[78:79]
	v_mul_f64 v[120:121], v[120:121], v[72:73]
	v_fma_f64 v[146:147], v[102:103], v[90:91], v[146:147]
	v_fma_f64 v[102:103], v[102:103], v[68:69], v[120:121]
	;; [unrolled: 1-line block ×4, first 2 shown]
	s_waitcnt vmcnt(0)
	v_fma_f64 v[146:147], v[252:253], v[146:147], v[148:149]
	buffer_store_dword v147, off, s[0:3], 0 offset:772
	buffer_store_dword v146, off, s[0:3], 0 offset:768
	;; [unrolled: 1-line block ×4, first 2 shown]
	s_clause 0x1
	buffer_load_dword v110, off, s[0:3], 0 offset:1280
	buffer_load_dword v111, off, s[0:3], 0 offset:1284
	s_waitcnt vmcnt(0)
	v_fma_f64 v[102:103], v[252:253], v[102:103], v[110:111]
	buffer_store_dword v103, off, s[0:3], 0 offset:780
	buffer_store_dword v102, off, s[0:3], 0 offset:776
	;; [unrolled: 1-line block ×4, first 2 shown]
	s_clause 0x1
	buffer_load_dword v120, off, s[0:3], 0 offset:1272
	buffer_load_dword v121, off, s[0:3], 0 offset:1276
	v_mul_f64 v[110:111], v[96:97], v[96:97]
	v_fma_f64 v[110:111], v[88:89], v[88:89], v[110:111]
	v_fma_f64 v[110:111], v[92:93], v[92:93], v[110:111]
	s_waitcnt vmcnt(0)
	v_fma_f64 v[110:111], v[252:253], v[110:111], v[120:121]
	buffer_store_dword v111, off, s[0:3], 0 offset:852
	buffer_store_dword v110, off, s[0:3], 0 offset:848
	s_clause 0x1
	buffer_load_dword v148, off, s[0:3], 0 offset:1264
	buffer_load_dword v149, off, s[0:3], 0 offset:1268
	v_mul_f64 v[120:121], v[96:97], v[86:87]
	v_fma_f64 v[120:121], v[88:89], v[82:83], v[120:121]
	v_fma_f64 v[120:121], v[92:93], v[84:85], v[120:121]
	s_waitcnt vmcnt(0)
	v_fma_f64 v[120:121], v[252:253], v[120:121], v[148:149]
	buffer_store_dword v121, off, s[0:3], 0 offset:860
	buffer_store_dword v120, off, s[0:3], 0 offset:856
	;; [unrolled: 1-line block ×4, first 2 shown]
	s_clause 0x1
	buffer_load_dword v160, off, s[0:3], 0 offset:1256
	buffer_load_dword v161, off, s[0:3], 0 offset:1260
	v_mul_f64 v[148:149], v[96:97], v[78:79]
	v_mul_f64 v[96:97], v[96:97], v[72:73]
	v_fma_f64 v[148:149], v[88:89], v[90:91], v[148:149]
	v_fma_f64 v[88:89], v[88:89], v[68:69], v[96:97]
	;; [unrolled: 1-line block ×4, first 2 shown]
	s_waitcnt vmcnt(0)
	v_fma_f64 v[162:163], v[252:253], v[148:149], v[160:161]
	buffer_store_dword v163, off, s[0:3], 0 offset:868
	buffer_store_dword v162, off, s[0:3], 0 offset:864
	;; [unrolled: 1-line block ×4, first 2 shown]
	s_clause 0x1
	buffer_load_dword v92, off, s[0:3], 0 offset:1232
	buffer_load_dword v93, off, s[0:3], 0 offset:1236
	s_waitcnt vmcnt(0)
	v_fma_f64 v[88:89], v[252:253], v[88:89], v[92:93]
	buffer_store_dword v89, off, s[0:3], 0 offset:876
	buffer_store_dword v88, off, s[0:3], 0 offset:872
	buffer_store_dword v89, off, s[0:3], 0 offset:1140
	buffer_store_dword v88, off, s[0:3], 0 offset:1136
	s_clause 0x1
	buffer_load_dword v96, off, s[0:3], 0 offset:1240
	buffer_load_dword v97, off, s[0:3], 0 offset:1244
	v_mul_f64 v[92:93], v[86:87], v[86:87]
	v_fma_f64 v[92:93], v[82:83], v[82:83], v[92:93]
	v_fma_f64 v[92:93], v[84:85], v[84:85], v[92:93]
	s_waitcnt vmcnt(0)
	v_fma_f64 v[92:93], v[252:253], v[92:93], v[96:97]
	buffer_store_dword v93, off, s[0:3], 0 offset:956
	buffer_store_dword v92, off, s[0:3], 0 offset:952
	s_clause 0x1
	buffer_load_dword v148, off, s[0:3], 0 offset:1224
	buffer_load_dword v149, off, s[0:3], 0 offset:1228
	v_mul_f64 v[96:97], v[86:87], v[78:79]
	v_mul_f64 v[86:87], v[86:87], v[72:73]
	v_fma_f64 v[96:97], v[82:83], v[90:91], v[96:97]
	v_fma_f64 v[82:83], v[82:83], v[68:69], v[86:87]
	;; [unrolled: 1-line block ×4, first 2 shown]
	s_waitcnt vmcnt(0)
	v_fma_f64 v[96:97], v[252:253], v[96:97], v[148:149]
	buffer_store_dword v97, off, s[0:3], 0 offset:964
	buffer_store_dword v96, off, s[0:3], 0 offset:960
	buffer_store_dword v97, off, s[0:3], 0 offset:1052
	buffer_store_dword v96, off, s[0:3], 0 offset:1048
	s_clause 0x1
	buffer_load_dword v84, off, s[0:3], 0 offset:1216
	buffer_load_dword v85, off, s[0:3], 0 offset:1220
	s_waitcnt vmcnt(0)
	v_fma_f64 v[82:83], v[252:253], v[82:83], v[84:85]
	buffer_store_dword v83, off, s[0:3], 0 offset:972
	buffer_store_dword v82, off, s[0:3], 0 offset:968
	;; [unrolled: 1-line block ×4, first 2 shown]
	s_clause 0x1
	buffer_load_dword v86, off, s[0:3], 0 offset:1208
	buffer_load_dword v87, off, s[0:3], 0 offset:1212
	v_mul_f64 v[84:85], v[78:79], v[78:79]
	v_mul_f64 v[78:79], v[78:79], v[72:73]
	;; [unrolled: 1-line block ×3, first 2 shown]
	v_fma_f64 v[84:85], v[90:91], v[90:91], v[84:85]
	v_fma_f64 v[78:79], v[90:91], v[68:69], v[78:79]
	;; [unrolled: 1-line block ×6, first 2 shown]
	s_waitcnt vmcnt(0)
	v_fma_f64 v[84:85], v[252:253], v[84:85], v[86:87]
	buffer_store_dword v85, off, s[0:3], 0 offset:1060
	buffer_store_dword v84, off, s[0:3], 0 offset:1056
	s_clause 0x3
	buffer_load_dword v80, off, s[0:3], 0 offset:1656
	buffer_load_dword v81, off, s[0:3], 0 offset:1660
	;; [unrolled: 1-line block ×4, first 2 shown]
	s_waitcnt vmcnt(0)
	v_fma_f64 v[78:79], v[252:253], v[78:79], v[86:87]
	buffer_store_dword v79, off, s[0:3], 0 offset:1068
	buffer_store_dword v78, off, s[0:3], 0 offset:1064
	;; [unrolled: 1-line block ×4, first 2 shown]
	s_clause 0x3
	buffer_load_dword v72, off, s[0:3], 0 offset:1632
	buffer_load_dword v73, off, s[0:3], 0 offset:1636
	;; [unrolled: 1-line block ×4, first 2 shown]
	s_waitcnt vmcnt(0)
	v_fma_f64 v[68:69], v[252:253], v[68:69], v[70:71]
	v_mul_f64 v[70:71], v[66:67], v[66:67]
	buffer_store_dword v69, off, s[0:3], 0 offset:1164
	buffer_store_dword v68, off, s[0:3], 0 offset:1160
	v_fma_f64 v[70:71], v[58:59], v[58:59], v[70:71]
	v_fma_f64 v[70:71], v[62:63], v[62:63], v[70:71]
	;; [unrolled: 1-line block ×3, first 2 shown]
	buffer_store_dword v71, off, s[0:3], 0 offset:20
	buffer_store_dword v70, off, s[0:3], 0 offset:1184 ; 4-byte Folded Spill
	buffer_store_dword v71, off, s[0:3], 0 offset:1188 ; 4-byte Folded Spill
	buffer_store_dword v70, off, s[0:3], 0 offset:16
	v_mul_f64 v[70:71], v[66:67], v[54:55]
	v_fma_f64 v[70:71], v[58:59], v[48:49], v[70:71]
	v_fma_f64 v[70:71], v[62:63], v[52:53], v[70:71]
	v_fma_f64 v[244:245], v[252:253], v[70:71], v[244:245]
	v_mul_f64 v[70:71], v[66:67], v[46:47]
	buffer_store_dword v245, off, s[0:3], 0 offset:28
	buffer_store_dword v244, off, s[0:3], 0 offset:24
	buffer_store_dword v245, off, s[0:3], 0 offset:116
	buffer_store_dword v244, off, s[0:3], 0 offset:112
	v_fma_f64 v[70:71], v[58:59], v[42:43], v[70:71]
	v_fma_f64 v[70:71], v[62:63], v[44:45], v[70:71]
	v_fma_f64 v[242:243], v[252:253], v[70:71], v[242:243]
	v_mul_f64 v[70:71], v[66:67], v[40:41]
	buffer_store_dword v243, off, s[0:3], 0 offset:36
	buffer_store_dword v242, off, s[0:3], 0 offset:32
	buffer_store_dword v243, off, s[0:3], 0 offset:212
	buffer_store_dword v242, off, s[0:3], 0 offset:208
	;; [unrolled: 8-line block ×8, first 2 shown]
	v_fma_f64 v[70:71], v[58:59], v[8:9], v[70:71]
	v_fma_f64 v[70:71], v[62:63], v[10:11], v[70:71]
	;; [unrolled: 1-line block ×3, first 2 shown]
	v_mul_f64 v[70:71], v[66:67], v[6:7]
	v_mul_f64 v[66:67], v[66:67], v[0:1]
	buffer_store_dword v229, off, s[0:3], 0 offset:92
	buffer_store_dword v228, off, s[0:3], 0 offset:88
	;; [unrolled: 1-line block ×4, first 2 shown]
	v_fma_f64 v[70:71], v[58:59], v[2:3], v[70:71]
	v_fma_f64 v[58:59], v[58:59], v[254:255], v[66:67]
	;; [unrolled: 1-line block ×6, first 2 shown]
	v_mul_f64 v[58:59], v[54:55], v[54:55]
	s_clause 0x1
	buffer_load_dword v70, off, s[0:3], 0 offset:1624
	buffer_load_dword v71, off, s[0:3], 0 offset:1628
	buffer_store_dword v227, off, s[0:3], 0 offset:100
	buffer_store_dword v226, off, s[0:3], 0 offset:96
	;; [unrolled: 1-line block ×4, first 2 shown]
	s_clause 0x1
	buffer_load_dword v66, off, s[0:3], 0 offset:1600
	buffer_load_dword v67, off, s[0:3], 0 offset:1604
	v_fma_f64 v[58:59], v[48:49], v[48:49], v[58:59]
	s_clause 0x1
	buffer_load_dword v62, off, s[0:3], 0 offset:1584
	buffer_load_dword v63, off, s[0:3], 0 offset:1588
	buffer_store_dword v225, off, s[0:3], 0 offset:108
	buffer_store_dword v224, off, s[0:3], 0 offset:104
	;; [unrolled: 1-line block ×4, first 2 shown]
	v_fma_f64 v[58:59], v[52:53], v[52:53], v[58:59]
	v_fma_f64 v[58:59], v[252:253], v[58:59], v[108:109]
	buffer_store_dword v59, off, s[0:3], 0 offset:124
	buffer_store_dword v58, off, s[0:3], 0 offset:1176 ; 4-byte Folded Spill
	buffer_store_dword v59, off, s[0:3], 0 offset:1180 ; 4-byte Folded Spill
	buffer_store_dword v58, off, s[0:3], 0 offset:120
	v_mul_f64 v[58:59], v[54:55], v[46:47]
	v_fma_f64 v[58:59], v[48:49], v[42:43], v[58:59]
	v_fma_f64 v[58:59], v[52:53], v[44:45], v[58:59]
	v_fma_f64 v[220:221], v[252:253], v[58:59], v[220:221]
	v_mul_f64 v[58:59], v[54:55], v[40:41]
	buffer_store_dword v221, off, s[0:3], 0 offset:132
	buffer_store_dword v220, off, s[0:3], 0 offset:128
	buffer_store_dword v221, off, s[0:3], 0 offset:220
	buffer_store_dword v220, off, s[0:3], 0 offset:216
	v_fma_f64 v[58:59], v[48:49], v[36:37], v[58:59]
	v_fma_f64 v[58:59], v[52:53], v[38:39], v[58:59]
	v_fma_f64 v[218:219], v[252:253], v[58:59], v[218:219]
	v_mul_f64 v[58:59], v[54:55], v[34:35]
	buffer_store_dword v219, off, s[0:3], 0 offset:140
	buffer_store_dword v218, off, s[0:3], 0 offset:136
	buffer_store_dword v219, off, s[0:3], 0 offset:316
	buffer_store_dword v218, off, s[0:3], 0 offset:312
	;; [unrolled: 8-line block ×7, first 2 shown]
	v_fma_f64 v[58:59], v[48:49], v[8:9], v[58:59]
	v_fma_f64 v[58:59], v[52:53], v[10:11], v[58:59]
	;; [unrolled: 1-line block ×3, first 2 shown]
	v_mul_f64 v[58:59], v[54:55], v[6:7]
	v_mul_f64 v[54:55], v[54:55], v[0:1]
	buffer_store_dword v207, off, s[0:3], 0 offset:188
	buffer_store_dword v206, off, s[0:3], 0 offset:184
	;; [unrolled: 1-line block ×4, first 2 shown]
	v_fma_f64 v[58:59], v[48:49], v[2:3], v[58:59]
	v_fma_f64 v[48:49], v[48:49], v[254:255], v[54:55]
	;; [unrolled: 1-line block ×6, first 2 shown]
	v_mul_f64 v[48:49], v[46:47], v[46:47]
	s_clause 0x1
	buffer_load_dword v58, off, s[0:3], 0 offset:1568
	buffer_load_dword v59, off, s[0:3], 0 offset:1572
	buffer_store_dword v205, off, s[0:3], 0 offset:196
	buffer_store_dword v204, off, s[0:3], 0 offset:192
	;; [unrolled: 1-line block ×4, first 2 shown]
	s_clause 0x1
	buffer_load_dword v54, off, s[0:3], 0 offset:1552
	buffer_load_dword v55, off, s[0:3], 0 offset:1556
	v_fma_f64 v[48:49], v[42:43], v[42:43], v[48:49]
	s_clause 0x1
	buffer_load_dword v52, off, s[0:3], 0 offset:1544
	buffer_load_dword v53, off, s[0:3], 0 offset:1548
	buffer_store_dword v203, off, s[0:3], 0 offset:204
	buffer_store_dword v202, off, s[0:3], 0 offset:200
	;; [unrolled: 1-line block ×4, first 2 shown]
	v_fma_f64 v[48:49], v[44:45], v[44:45], v[48:49]
	v_fma_f64 v[48:49], v[252:253], v[48:49], v[112:113]
	buffer_store_dword v49, off, s[0:3], 0 offset:228
	buffer_store_dword v48, off, s[0:3], 0 offset:1168 ; 4-byte Folded Spill
	buffer_store_dword v49, off, s[0:3], 0 offset:1172 ; 4-byte Folded Spill
	buffer_store_dword v48, off, s[0:3], 0 offset:224
	v_mul_f64 v[48:49], v[46:47], v[40:41]
	v_fma_f64 v[48:49], v[42:43], v[36:37], v[48:49]
	v_fma_f64 v[48:49], v[44:45], v[38:39], v[48:49]
	v_fma_f64 v[198:199], v[252:253], v[48:49], v[198:199]
	v_mul_f64 v[48:49], v[46:47], v[34:35]
	buffer_store_dword v199, off, s[0:3], 0 offset:236
	buffer_store_dword v198, off, s[0:3], 0 offset:232
	buffer_store_dword v199, off, s[0:3], 0 offset:324
	buffer_store_dword v198, off, s[0:3], 0 offset:320
	v_fma_f64 v[48:49], v[42:43], v[30:31], v[48:49]
	v_fma_f64 v[48:49], v[44:45], v[32:33], v[48:49]
	v_fma_f64 v[196:197], v[252:253], v[48:49], v[196:197]
	v_mul_f64 v[48:49], v[46:47], v[28:29]
	buffer_store_dword v197, off, s[0:3], 0 offset:244
	buffer_store_dword v196, off, s[0:3], 0 offset:240
	buffer_store_dword v197, off, s[0:3], 0 offset:420
	buffer_store_dword v196, off, s[0:3], 0 offset:416
	;; [unrolled: 8-line block ×6, first 2 shown]
	v_fma_f64 v[48:49], v[42:43], v[8:9], v[48:49]
	v_fma_f64 v[48:49], v[44:45], v[10:11], v[48:49]
	;; [unrolled: 1-line block ×3, first 2 shown]
	v_mul_f64 v[48:49], v[46:47], v[6:7]
	v_mul_f64 v[46:47], v[46:47], v[0:1]
	buffer_store_dword v187, off, s[0:3], 0 offset:284
	buffer_store_dword v186, off, s[0:3], 0 offset:280
	;; [unrolled: 1-line block ×4, first 2 shown]
	v_fma_f64 v[48:49], v[42:43], v[2:3], v[48:49]
	v_fma_f64 v[42:43], v[42:43], v[254:255], v[46:47]
	v_fma_f64 v[48:49], v[44:45], v[4:5], v[48:49]
	v_fma_f64 v[42:43], v[44:45], v[250:251], v[42:43]
	v_fma_f64 v[184:185], v[252:253], v[48:49], v[184:185]
	v_fma_f64 v[182:183], v[252:253], v[42:43], v[182:183]
	v_mul_f64 v[42:43], v[40:41], v[40:41]
	s_clause 0x1
	buffer_load_dword v48, off, s[0:3], 0 offset:1688
	buffer_load_dword v49, off, s[0:3], 0 offset:1692
	buffer_store_dword v185, off, s[0:3], 0 offset:292
	buffer_store_dword v184, off, s[0:3], 0 offset:288
	;; [unrolled: 1-line block ×4, first 2 shown]
	s_clause 0x1
	buffer_load_dword v46, off, s[0:3], 0 offset:1712
	buffer_load_dword v47, off, s[0:3], 0 offset:1716
	v_fma_f64 v[42:43], v[36:37], v[36:37], v[42:43]
	buffer_store_dword v183, off, s[0:3], 0 offset:300
	buffer_store_dword v182, off, s[0:3], 0 offset:296
	;; [unrolled: 1-line block ×4, first 2 shown]
	v_fma_f64 v[42:43], v[38:39], v[38:39], v[42:43]
	v_fma_f64 v[248:249], v[252:253], v[42:43], v[114:115]
	v_mul_f64 v[42:43], v[40:41], v[34:35]
	buffer_store_dword v249, off, s[0:3], 0 offset:332
	buffer_store_dword v248, off, s[0:3], 0 offset:328
	v_fma_f64 v[42:43], v[36:37], v[30:31], v[42:43]
	v_fma_f64 v[42:43], v[38:39], v[32:33], v[42:43]
	v_fma_f64 v[178:179], v[252:253], v[42:43], v[178:179]
	v_mul_f64 v[42:43], v[40:41], v[28:29]
	buffer_store_dword v179, off, s[0:3], 0 offset:340
	buffer_store_dword v178, off, s[0:3], 0 offset:336
	buffer_store_dword v179, off, s[0:3], 0 offset:428
	buffer_store_dword v178, off, s[0:3], 0 offset:424
	v_fma_f64 v[42:43], v[36:37], v[24:25], v[42:43]
	v_fma_f64 v[42:43], v[38:39], v[26:27], v[42:43]
	v_fma_f64 v[176:177], v[252:253], v[42:43], v[176:177]
	v_mul_f64 v[42:43], v[40:41], v[22:23]
	buffer_store_dword v177, off, s[0:3], 0 offset:348
	buffer_store_dword v176, off, s[0:3], 0 offset:344
	;; [unrolled: 8-line block ×5, first 2 shown]
	buffer_store_dword v171, off, s[0:3], 0 offset:812
	buffer_store_dword v170, off, s[0:3], 0 offset:808
	v_fma_f64 v[42:43], v[36:37], v[8:9], v[42:43]
	v_fma_f64 v[42:43], v[38:39], v[10:11], v[42:43]
	;; [unrolled: 1-line block ×3, first 2 shown]
	v_mul_f64 v[42:43], v[40:41], v[6:7]
	v_mul_f64 v[40:41], v[40:41], v[0:1]
	buffer_store_dword v169, off, s[0:3], 0 offset:380
	buffer_store_dword v168, off, s[0:3], 0 offset:376
	;; [unrolled: 1-line block ×4, first 2 shown]
	v_fma_f64 v[42:43], v[36:37], v[2:3], v[42:43]
	v_fma_f64 v[36:37], v[36:37], v[254:255], v[40:41]
	;; [unrolled: 1-line block ×6, first 2 shown]
	v_mul_f64 v[36:37], v[34:35], v[34:35]
	buffer_store_dword v167, off, s[0:3], 0 offset:388
	buffer_store_dword v166, off, s[0:3], 0 offset:384
	;; [unrolled: 1-line block ×4, first 2 shown]
	s_clause 0x1
	buffer_load_dword v41, off, s[0:3], 0 offset:1720
	buffer_load_dword v42, off, s[0:3], 0 offset:1724
	v_fma_f64 v[36:37], v[30:31], v[30:31], v[36:37]
	s_clause 0x1
	buffer_load_dword v39, off, s[0:3], 0 offset:1704
	buffer_load_dword v40, off, s[0:3], 0 offset:1708
	buffer_store_dword v165, off, s[0:3], 0 offset:396
	buffer_store_dword v164, off, s[0:3], 0 offset:392
	;; [unrolled: 1-line block ×4, first 2 shown]
	v_fma_f64 v[36:37], v[32:33], v[32:33], v[36:37]
	v_fma_f64 v[222:223], v[252:253], v[36:37], v[100:101]
	v_mul_f64 v[36:37], v[34:35], v[28:29]
	buffer_store_dword v223, off, s[0:3], 0 offset:436
	buffer_store_dword v222, off, s[0:3], 0 offset:432
	v_fma_f64 v[36:37], v[30:31], v[24:25], v[36:37]
	v_fma_f64 v[36:37], v[32:33], v[26:27], v[36:37]
	v_fma_f64 v[160:161], v[252:253], v[36:37], v[104:105]
	v_mul_f64 v[36:37], v[34:35], v[22:23]
	buffer_store_dword v161, off, s[0:3], 0 offset:444
	buffer_store_dword v160, off, s[0:3], 0 offset:440
	buffer_store_dword v161, off, s[0:3], 0 offset:532
	buffer_store_dword v160, off, s[0:3], 0 offset:528
	v_fma_f64 v[36:37], v[30:31], v[18:19], v[36:37]
	v_fma_f64 v[36:37], v[32:33], v[20:21], v[36:37]
	v_fma_f64 v[200:201], v[252:253], v[36:37], v[158:159]
	v_mul_f64 v[36:37], v[34:35], v[64:65]
	buffer_store_dword v201, off, s[0:3], 0 offset:452
	buffer_store_dword v200, off, s[0:3], 0 offset:448
	;; [unrolled: 8-line block ×4, first 2 shown]
	buffer_store_dword v157, off, s[0:3], 0 offset:820
	buffer_store_dword v156, off, s[0:3], 0 offset:816
	v_fma_f64 v[36:37], v[30:31], v[8:9], v[36:37]
	v_fma_f64 v[36:37], v[32:33], v[10:11], v[36:37]
	;; [unrolled: 1-line block ×3, first 2 shown]
	v_mul_f64 v[36:37], v[34:35], v[6:7]
	v_mul_f64 v[34:35], v[34:35], v[0:1]
	buffer_store_dword v155, off, s[0:3], 0 offset:476
	buffer_store_dword v154, off, s[0:3], 0 offset:472
	;; [unrolled: 1-line block ×4, first 2 shown]
	v_fma_f64 v[36:37], v[30:31], v[2:3], v[36:37]
	v_fma_f64 v[30:31], v[30:31], v[254:255], v[34:35]
	;; [unrolled: 1-line block ×6, first 2 shown]
	v_mul_f64 v[30:31], v[28:29], v[28:29]
	s_clause 0x1
	buffer_load_dword v37, off, s[0:3], 0 offset:1696
	buffer_load_dword v38, off, s[0:3], 0 offset:1700
	buffer_store_dword v153, off, s[0:3], 0 offset:484
	buffer_store_dword v152, off, s[0:3], 0 offset:480
	;; [unrolled: 1-line block ×4, first 2 shown]
	s_clause 0x1
	buffer_load_dword v35, off, s[0:3], 0 offset:1680
	buffer_load_dword v36, off, s[0:3], 0 offset:1684
	v_fma_f64 v[30:31], v[24:25], v[24:25], v[30:31]
	s_clause 0x1
	buffer_load_dword v33, off, s[0:3], 0 offset:1672
	buffer_load_dword v34, off, s[0:3], 0 offset:1676
	buffer_store_dword v151, off, s[0:3], 0 offset:492
	buffer_store_dword v150, off, s[0:3], 0 offset:488
	;; [unrolled: 1-line block ×4, first 2 shown]
	v_fma_f64 v[30:31], v[26:27], v[26:27], v[30:31]
	v_fma_f64 v[148:149], v[252:253], v[30:31], v[246:247]
	v_mul_f64 v[30:31], v[28:29], v[22:23]
	buffer_store_dword v149, off, s[0:3], 0 offset:540
	buffer_store_dword v148, off, s[0:3], 0 offset:536
	v_fma_f64 v[30:31], v[24:25], v[18:19], v[30:31]
	v_fma_f64 v[30:31], v[26:27], v[20:21], v[30:31]
	v_fma_f64 v[43:44], v[252:253], v[30:31], v[144:145]
	v_mul_f64 v[30:31], v[28:29], v[64:65]
	buffer_store_dword v44, off, s[0:3], 0 offset:548
	buffer_store_dword v43, off, s[0:3], 0 offset:544
	buffer_store_dword v44, off, s[0:3], 0 offset:636
	buffer_store_dword v43, off, s[0:3], 0 offset:632
	v_fma_f64 v[30:31], v[24:25], v[56:57], v[30:31]
	v_fma_f64 v[30:31], v[26:27], v[60:61], v[30:31]
	v_fma_f64 v[144:145], v[252:253], v[30:31], v[142:143]
	v_mul_f64 v[30:31], v[28:29], v[50:51]
	buffer_store_dword v145, off, s[0:3], 0 offset:556
	buffer_store_dword v144, off, s[0:3], 0 offset:552
	;; [unrolled: 8-line block ×3, first 2 shown]
	buffer_store_dword v143, off, s[0:3], 0 offset:828
	buffer_store_dword v142, off, s[0:3], 0 offset:824
	v_fma_f64 v[30:31], v[24:25], v[8:9], v[30:31]
	v_fma_f64 v[30:31], v[26:27], v[10:11], v[30:31]
	;; [unrolled: 1-line block ×3, first 2 shown]
	v_mul_f64 v[30:31], v[28:29], v[6:7]
	v_mul_f64 v[28:29], v[28:29], v[0:1]
	buffer_store_dword v141, off, s[0:3], 0 offset:572
	buffer_store_dword v140, off, s[0:3], 0 offset:568
	;; [unrolled: 1-line block ×4, first 2 shown]
	v_fma_f64 v[30:31], v[24:25], v[2:3], v[30:31]
	v_fma_f64 v[24:25], v[24:25], v[254:255], v[28:29]
	;; [unrolled: 1-line block ×6, first 2 shown]
	v_mul_f64 v[24:25], v[22:23], v[22:23]
	s_clause 0x1
	buffer_load_dword v30, off, s[0:3], 0 offset:1648
	buffer_load_dword v31, off, s[0:3], 0 offset:1652
	buffer_store_dword v139, off, s[0:3], 0 offset:580
	buffer_store_dword v138, off, s[0:3], 0 offset:576
	;; [unrolled: 1-line block ×4, first 2 shown]
	s_clause 0x1
	buffer_load_dword v28, off, s[0:3], 0 offset:1616
	buffer_load_dword v29, off, s[0:3], 0 offset:1620
	v_fma_f64 v[24:25], v[18:19], v[18:19], v[24:25]
	buffer_store_dword v137, off, s[0:3], 0 offset:588
	buffer_store_dword v136, off, s[0:3], 0 offset:584
	;; [unrolled: 1-line block ×4, first 2 shown]
	v_fma_f64 v[24:25], v[20:21], v[20:21], v[24:25]
	v_fma_f64 v[134:135], v[252:253], v[24:25], v[180:181]
	v_mul_f64 v[24:25], v[22:23], v[64:65]
	buffer_store_dword v135, off, s[0:3], 0 offset:644
	buffer_store_dword v134, off, s[0:3], 0 offset:640
	v_fma_f64 v[24:25], v[18:19], v[56:57], v[24:25]
	v_fma_f64 v[24:25], v[20:21], v[60:61], v[24:25]
	;; [unrolled: 1-line block ×3, first 2 shown]
	v_mul_f64 v[24:25], v[22:23], v[50:51]
	buffer_store_dword v131, off, s[0:3], 0 offset:652
	buffer_store_dword v130, off, s[0:3], 0 offset:648
	;; [unrolled: 1-line block ×4, first 2 shown]
	v_fma_f64 v[24:25], v[18:19], v[14:15], v[24:25]
	v_fma_f64 v[24:25], v[20:21], v[16:17], v[24:25]
	;; [unrolled: 1-line block ×3, first 2 shown]
	v_mul_f64 v[24:25], v[22:23], v[12:13]
	buffer_store_dword v129, off, s[0:3], 0 offset:660
	buffer_store_dword v128, off, s[0:3], 0 offset:656
	;; [unrolled: 1-line block ×4, first 2 shown]
	v_fma_f64 v[24:25], v[18:19], v[8:9], v[24:25]
	v_fma_f64 v[24:25], v[20:21], v[10:11], v[24:25]
	;; [unrolled: 1-line block ×3, first 2 shown]
	v_mul_f64 v[24:25], v[22:23], v[6:7]
	v_mul_f64 v[22:23], v[22:23], v[0:1]
	buffer_store_dword v127, off, s[0:3], 0 offset:668
	buffer_store_dword v126, off, s[0:3], 0 offset:664
	;; [unrolled: 1-line block ×4, first 2 shown]
	v_fma_f64 v[24:25], v[18:19], v[2:3], v[24:25]
	v_fma_f64 v[18:19], v[18:19], v[254:255], v[22:23]
	;; [unrolled: 1-line block ×6, first 2 shown]
	v_mul_f64 v[18:19], v[64:65], v[64:65]
	buffer_store_dword v125, off, s[0:3], 0 offset:676
	buffer_store_dword v124, off, s[0:3], 0 offset:672
	;; [unrolled: 1-line block ×8, first 2 shown]
	v_fma_f64 v[18:19], v[56:57], v[56:57], v[18:19]
	v_fma_f64 v[18:19], v[60:61], v[60:61], v[18:19]
	;; [unrolled: 1-line block ×3, first 2 shown]
	v_mul_f64 v[18:19], v[64:65], v[50:51]
	buffer_store_dword v115, off, s[0:3], 0 offset:748
	buffer_store_dword v114, off, s[0:3], 0 offset:744
	v_fma_f64 v[18:19], v[56:57], v[14:15], v[18:19]
	v_fma_f64 v[18:19], v[60:61], v[16:17], v[18:19]
	v_fma_f64 v[112:113], v[252:253], v[18:19], v[118:119]
	v_mul_f64 v[18:19], v[64:65], v[12:13]
	buffer_store_dword v113, off, s[0:3], 0 offset:756
	buffer_store_dword v112, off, s[0:3], 0 offset:752
	buffer_store_dword v113, off, s[0:3], 0 offset:844
	buffer_store_dword v112, off, s[0:3], 0 offset:840
	v_fma_f64 v[18:19], v[56:57], v[8:9], v[18:19]
	v_fma_f64 v[18:19], v[60:61], v[10:11], v[18:19]
	v_fma_f64 v[108:109], v[252:253], v[18:19], v[116:117]
	v_mul_f64 v[18:19], v[64:65], v[6:7]
	buffer_store_dword v109, off, s[0:3], 0 offset:764
	buffer_store_dword v108, off, s[0:3], 0 offset:760
	;; [unrolled: 8-line block ×3, first 2 shown]
	buffer_store_dword v107, off, s[0:3], 0 offset:1036
	buffer_store_dword v106, off, s[0:3], 0 offset:1032
	v_fma_f64 v[18:19], v[56:57], v[254:255], v[18:19]
	s_clause 0x3
	buffer_load_dword v64, off, s[0:3], 0 offset:1592
	buffer_load_dword v65, off, s[0:3], 0 offset:1596
	buffer_load_dword v56, off, s[0:3], 0 offset:1560
	buffer_load_dword v57, off, s[0:3], 0 offset:1564
	v_fma_f64 v[18:19], v[60:61], v[250:251], v[18:19]
	s_clause 0x1
	buffer_load_dword v60, off, s[0:3], 0 offset:1576
	buffer_load_dword v61, off, s[0:3], 0 offset:1580
	v_fma_f64 v[104:105], v[252:253], v[18:19], v[102:103]
	v_mul_f64 v[18:19], v[50:51], v[50:51]
	buffer_store_dword v105, off, s[0:3], 0 offset:780
	buffer_store_dword v104, off, s[0:3], 0 offset:776
	;; [unrolled: 1-line block ×4, first 2 shown]
	v_fma_f64 v[18:19], v[14:15], v[14:15], v[18:19]
	v_fma_f64 v[18:19], v[16:17], v[16:17], v[18:19]
	;; [unrolled: 1-line block ×3, first 2 shown]
	v_mul_f64 v[18:19], v[50:51], v[12:13]
	buffer_store_dword v103, off, s[0:3], 0 offset:852
	buffer_store_dword v102, off, s[0:3], 0 offset:848
	v_fma_f64 v[18:19], v[14:15], v[8:9], v[18:19]
	v_fma_f64 v[18:19], v[16:17], v[10:11], v[18:19]
	;; [unrolled: 1-line block ×3, first 2 shown]
	v_mul_f64 v[18:19], v[50:51], v[6:7]
	buffer_store_dword v101, off, s[0:3], 0 offset:860
	buffer_store_dword v100, off, s[0:3], 0 offset:856
	buffer_store_dword v101, off, s[0:3], 0 offset:948
	buffer_store_dword v100, off, s[0:3], 0 offset:944
	v_fma_f64 v[18:19], v[14:15], v[2:3], v[18:19]
	v_fma_f64 v[18:19], v[16:17], v[4:5], v[18:19]
	;; [unrolled: 1-line block ×3, first 2 shown]
	v_mul_f64 v[18:19], v[50:51], v[0:1]
	buffer_store_dword v99, off, s[0:3], 0 offset:868
	buffer_store_dword v98, off, s[0:3], 0 offset:864
	;; [unrolled: 1-line block ×4, first 2 shown]
	v_fma_f64 v[14:15], v[14:15], v[254:255], v[18:19]
	s_clause 0x1
	buffer_load_dword v50, off, s[0:3], 0 offset:1536
	buffer_load_dword v51, off, s[0:3], 0 offset:1540
	v_fma_f64 v[14:15], v[16:17], v[250:251], v[14:15]
	v_fma_f64 v[94:95], v[252:253], v[14:15], v[88:89]
	v_mul_f64 v[14:15], v[12:13], v[12:13]
	buffer_store_dword v95, off, s[0:3], 0 offset:876
	buffer_store_dword v94, off, s[0:3], 0 offset:872
	;; [unrolled: 1-line block ×4, first 2 shown]
	v_fma_f64 v[14:15], v[8:9], v[8:9], v[14:15]
	v_fma_f64 v[14:15], v[10:11], v[10:11], v[14:15]
	;; [unrolled: 1-line block ×3, first 2 shown]
	v_mul_f64 v[14:15], v[12:13], v[6:7]
	v_mul_f64 v[12:13], v[12:13], v[0:1]
	buffer_store_dword v93, off, s[0:3], 0 offset:956
	buffer_store_dword v92, off, s[0:3], 0 offset:952
	v_fma_f64 v[14:15], v[8:9], v[2:3], v[14:15]
	v_fma_f64 v[8:9], v[8:9], v[254:255], v[12:13]
	;; [unrolled: 1-line block ×6, first 2 shown]
	v_mul_f64 v[8:9], v[6:7], v[6:7]
	v_mul_f64 v[6:7], v[6:7], v[0:1]
	;; [unrolled: 1-line block ×3, first 2 shown]
	buffer_store_dword v91, off, s[0:3], 0 offset:964
	buffer_store_dword v90, off, s[0:3], 0 offset:960
	;; [unrolled: 1-line block ×4, first 2 shown]
	s_clause 0x1
	buffer_load_dword v82, off, s[0:3], 0 offset:1664
	buffer_load_dword v83, off, s[0:3], 0 offset:1668
	v_fma_f64 v[8:9], v[2:3], v[2:3], v[8:9]
	v_fma_f64 v[2:3], v[2:3], v[254:255], v[6:7]
	;; [unrolled: 1-line block ×3, first 2 shown]
	buffer_store_dword v89, off, s[0:3], 0 offset:972
	buffer_store_dword v88, off, s[0:3], 0 offset:968
	;; [unrolled: 1-line block ×4, first 2 shown]
	v_fma_f64 v[8:9], v[4:5], v[4:5], v[8:9]
	v_fma_f64 v[2:3], v[4:5], v[250:251], v[2:3]
	;; [unrolled: 1-line block ×5, first 2 shown]
	buffer_store_dword v87, off, s[0:3], 0 offset:1060
	buffer_store_dword v86, off, s[0:3], 0 offset:1056
	s_clause 0x1
	buffer_load_dword v78, off, s[0:3], 0 offset:1640
	buffer_load_dword v79, off, s[0:3], 0 offset:1644
	buffer_store_dword v85, off, s[0:3], 0 offset:1068
	buffer_store_dword v84, off, s[0:3], 0 offset:1064
	buffer_store_dword v85, off, s[0:3], 0 offset:1156
	buffer_store_dword v84, off, s[0:3], 0 offset:1152
	v_fma_f64 v[96:97], v[252:253], v[0:1], v[68:69]
	s_clause 0x1
	buffer_load_dword v68, off, s[0:3], 0 offset:1608
	buffer_load_dword v69, off, s[0:3], 0 offset:1612
	buffer_store_dword v97, off, s[0:3], 0 offset:1164
	buffer_store_dword v96, off, s[0:3], 0 offset:1160
	s_cbranch_vccz .LBB2_5
; %bb.6:                                ;   in Loop: Header=BB2_4 Depth=2
	s_clause 0x5
	buffer_load_dword v4, off, s[0:3], 0 offset:1184
	buffer_load_dword v5, off, s[0:3], 0 offset:1188
	;; [unrolled: 1-line block ×6, first 2 shown]
	s_mov_b32 s16, 8
	s_and_b32 vcc_lo, exec_lo, s19
	s_mov_b32 s4, 0
	s_cbranch_vccnz .LBB2_2
; %bb.7:                                ;   in Loop: Header=BB2_4 Depth=2
	s_mov_b64 s[14:15], s[10:11]
	s_branch .LBB2_4
.LBB2_8:
	s_waitcnt vmcnt(0)
	v_mov_b32_e32 v0, 0
	v_mov_b32_e32 v1, 0
.LBB2_9:                                ; =>This Inner Loop Header: Depth=1
	v_add_nc_u32_e64 v69, s4, 16
	s_addk_i32 s4, 0x120
	s_clause 0x3e
	buffer_load_dword v2, v69, s[0:3], 0 offen
	buffer_load_dword v3, v69, s[0:3], 0 offen offset:4
	buffer_load_dword v5, v69, s[0:3], 0 offen offset:100
	;; [unrolled: 1-line block ×62, first 2 shown]
	s_clause 0x8
	buffer_load_dword v61, v69, s[0:3], 0 offen offset:188
	buffer_load_dword v67, v69, s[0:3], 0 offen offset:260
	;; [unrolled: 1-line block ×9, first 2 shown]
	s_cmpk_lg_i32 s4, 0x480
	s_waitcnt vmcnt(62)
	v_add_f64 v[2:3], v[2:3], 0
	v_add_f64 v[4:5], v[4:5], 0
	;; [unrolled: 1-line block ×3, first 2 shown]
	s_waitcnt vmcnt(55)
	v_add_f64 v[12:13], v[14:15], 0
	v_add_f64 v[4:5], v[4:5], v[10:11]
	s_waitcnt vmcnt(53)
	v_add_f64 v[2:3], v[2:3], v[22:23]
	s_waitcnt vmcnt(52)
	v_add_f64 v[10:11], v[12:13], v[20:21]
	v_add_f64 v[4:5], v[4:5], v[8:9]
	s_waitcnt vmcnt(48)
	v_add_f64 v[2:3], v[2:3], v[24:25]
	v_add_f64 v[8:9], v[10:11], v[18:19]
	;; [unrolled: 1-line block ×3, first 2 shown]
	s_waitcnt vmcnt(46)
	v_add_f64 v[2:3], v[2:3], v[26:27]
	v_add_f64 v[6:7], v[8:9], v[16:17]
	s_waitcnt vmcnt(41)
	v_add_f64 v[4:5], v[4:5], v[28:29]
	s_waitcnt vmcnt(39)
	;; [unrolled: 2-line block ×3, first 2 shown]
	v_add_f64 v[6:7], v[6:7], v[38:39]
	v_add_f64 v[4:5], v[4:5], v[34:35]
	s_waitcnt vmcnt(29)
	v_add_f64 v[2:3], v[2:3], v[46:47]
	s_waitcnt vmcnt(28)
	v_add_f64 v[6:7], v[6:7], v[44:45]
	v_add_f64 v[4:5], v[4:5], v[32:33]
	s_waitcnt vmcnt(24)
	v_add_f64 v[2:3], v[2:3], v[48:49]
	v_add_f64 v[6:7], v[6:7], v[42:43]
	;; [unrolled: 1-line block ×3, first 2 shown]
	s_waitcnt vmcnt(19)
	v_add_f64 v[2:3], v[2:3], v[50:51]
	v_add_f64 v[6:7], v[6:7], v[40:41]
	s_waitcnt vmcnt(11)
	v_add_f64 v[4:5], v[4:5], v[58:59]
	v_add_f64 v[2:3], v[2:3], v[56:57]
	;; [unrolled: 3-line block ×3, first 2 shown]
	v_add_f64 v[2:3], v[2:3], v[54:55]
	s_waitcnt vmcnt(2)
	v_add_f64 v[6:7], v[6:7], v[72:73]
	v_add_f64 v[4:5], v[4:5], v[62:63]
	v_add_f64 v[2:3], v[2:3], v[52:53]
	s_waitcnt vmcnt(1)
	v_add_f64 v[6:7], v[6:7], v[70:71]
	v_add_f64 v[4:5], v[4:5], v[60:61]
	;; [unrolled: 4-line block ×3, first 2 shown]
	v_add_f64 v[0:1], v[0:1], v[2:3]
	s_cbranch_scc1 .LBB2_9
; %bb.10:
	s_clause 0x1
	buffer_load_dword v2, off, s[0:3], 0 offset:1824
	buffer_load_dword v3, off, s[0:3], 0 offset:1828
	s_waitcnt vmcnt(1)
	v_add_co_u32 v2, vcc_lo, s28, v2
	s_waitcnt vmcnt(0)
	v_add_co_ci_u32_e64 v3, null, s29, v3, vcc_lo
	global_store_dwordx2 v[2:3], v[0:1], off
.LBB2_11:
	s_endpgm
	.section	.rodata,"a",@progbits
	.p2align	6, 0x0
	.amdhsa_kernel _ZN4RAJA6policy3hip4impl18forallp_hip_kernelINS1_8hip_execINS_17iteration_mapping6DirectENS_3hip11IndexGlobalILNS_9named_dimE0ELi256ELi0EEENS7_40AvoidDeviceMaxThreadOccupancyConcretizerINS7_34FractionOffsetOccupancyConcretizerINS_8FractionImLm1ELm1EEELln1EEEEELb1EEENS_9Iterators16numeric_iteratorIllPlEEZN8rajaperf4apps6EDGE3D17runHipVariantImplILm256EEEvNSM_9VariantIDEEUllE0_lNS_4expt15ForallParamPackIJEEES6_SA_TnNSt9enable_ifIXaasr3std10is_base_ofINS5_10DirectBaseET4_EE5valuegtsrT5_10block_sizeLi0EEmE4typeELm256EEEvT1_T0_T2_T3_
		.amdhsa_group_segment_fixed_size 0
		.amdhsa_private_segment_fixed_size 1840
		.amdhsa_kernarg_size 220
		.amdhsa_user_sgpr_count 6
		.amdhsa_user_sgpr_private_segment_buffer 1
		.amdhsa_user_sgpr_dispatch_ptr 0
		.amdhsa_user_sgpr_queue_ptr 0
		.amdhsa_user_sgpr_kernarg_segment_ptr 1
		.amdhsa_user_sgpr_dispatch_id 0
		.amdhsa_user_sgpr_flat_scratch_init 0
		.amdhsa_user_sgpr_private_segment_size 0
		.amdhsa_wavefront_size32 1
		.amdhsa_uses_dynamic_stack 0
		.amdhsa_system_sgpr_private_segment_wavefront_offset 1
		.amdhsa_system_sgpr_workgroup_id_x 1
		.amdhsa_system_sgpr_workgroup_id_y 0
		.amdhsa_system_sgpr_workgroup_id_z 0
		.amdhsa_system_sgpr_workgroup_info 0
		.amdhsa_system_vgpr_workitem_id 0
		.amdhsa_next_free_vgpr 256
		.amdhsa_next_free_sgpr 52
		.amdhsa_reserve_vcc 1
		.amdhsa_reserve_flat_scratch 0
		.amdhsa_float_round_mode_32 0
		.amdhsa_float_round_mode_16_64 0
		.amdhsa_float_denorm_mode_32 3
		.amdhsa_float_denorm_mode_16_64 3
		.amdhsa_dx10_clamp 1
		.amdhsa_ieee_mode 1
		.amdhsa_fp16_overflow 0
		.amdhsa_workgroup_processor_mode 1
		.amdhsa_memory_ordered 1
		.amdhsa_forward_progress 1
		.amdhsa_shared_vgpr_count 0
		.amdhsa_exception_fp_ieee_invalid_op 0
		.amdhsa_exception_fp_denorm_src 0
		.amdhsa_exception_fp_ieee_div_zero 0
		.amdhsa_exception_fp_ieee_overflow 0
		.amdhsa_exception_fp_ieee_underflow 0
		.amdhsa_exception_fp_ieee_inexact 0
		.amdhsa_exception_int_div_zero 0
	.end_amdhsa_kernel
	.section	.text._ZN4RAJA6policy3hip4impl18forallp_hip_kernelINS1_8hip_execINS_17iteration_mapping6DirectENS_3hip11IndexGlobalILNS_9named_dimE0ELi256ELi0EEENS7_40AvoidDeviceMaxThreadOccupancyConcretizerINS7_34FractionOffsetOccupancyConcretizerINS_8FractionImLm1ELm1EEELln1EEEEELb1EEENS_9Iterators16numeric_iteratorIllPlEEZN8rajaperf4apps6EDGE3D17runHipVariantImplILm256EEEvNSM_9VariantIDEEUllE0_lNS_4expt15ForallParamPackIJEEES6_SA_TnNSt9enable_ifIXaasr3std10is_base_ofINS5_10DirectBaseET4_EE5valuegtsrT5_10block_sizeLi0EEmE4typeELm256EEEvT1_T0_T2_T3_,"axG",@progbits,_ZN4RAJA6policy3hip4impl18forallp_hip_kernelINS1_8hip_execINS_17iteration_mapping6DirectENS_3hip11IndexGlobalILNS_9named_dimE0ELi256ELi0EEENS7_40AvoidDeviceMaxThreadOccupancyConcretizerINS7_34FractionOffsetOccupancyConcretizerINS_8FractionImLm1ELm1EEELln1EEEEELb1EEENS_9Iterators16numeric_iteratorIllPlEEZN8rajaperf4apps6EDGE3D17runHipVariantImplILm256EEEvNSM_9VariantIDEEUllE0_lNS_4expt15ForallParamPackIJEEES6_SA_TnNSt9enable_ifIXaasr3std10is_base_ofINS5_10DirectBaseET4_EE5valuegtsrT5_10block_sizeLi0EEmE4typeELm256EEEvT1_T0_T2_T3_,comdat
.Lfunc_end2:
	.size	_ZN4RAJA6policy3hip4impl18forallp_hip_kernelINS1_8hip_execINS_17iteration_mapping6DirectENS_3hip11IndexGlobalILNS_9named_dimE0ELi256ELi0EEENS7_40AvoidDeviceMaxThreadOccupancyConcretizerINS7_34FractionOffsetOccupancyConcretizerINS_8FractionImLm1ELm1EEELln1EEEEELb1EEENS_9Iterators16numeric_iteratorIllPlEEZN8rajaperf4apps6EDGE3D17runHipVariantImplILm256EEEvNSM_9VariantIDEEUllE0_lNS_4expt15ForallParamPackIJEEES6_SA_TnNSt9enable_ifIXaasr3std10is_base_ofINS5_10DirectBaseET4_EE5valuegtsrT5_10block_sizeLi0EEmE4typeELm256EEEvT1_T0_T2_T3_, .Lfunc_end2-_ZN4RAJA6policy3hip4impl18forallp_hip_kernelINS1_8hip_execINS_17iteration_mapping6DirectENS_3hip11IndexGlobalILNS_9named_dimE0ELi256ELi0EEENS7_40AvoidDeviceMaxThreadOccupancyConcretizerINS7_34FractionOffsetOccupancyConcretizerINS_8FractionImLm1ELm1EEELln1EEEEELb1EEENS_9Iterators16numeric_iteratorIllPlEEZN8rajaperf4apps6EDGE3D17runHipVariantImplILm256EEEvNSM_9VariantIDEEUllE0_lNS_4expt15ForallParamPackIJEEES6_SA_TnNSt9enable_ifIXaasr3std10is_base_ofINS5_10DirectBaseET4_EE5valuegtsrT5_10block_sizeLi0EEmE4typeELm256EEEvT1_T0_T2_T3_
                                        ; -- End function
	.set _ZN4RAJA6policy3hip4impl18forallp_hip_kernelINS1_8hip_execINS_17iteration_mapping6DirectENS_3hip11IndexGlobalILNS_9named_dimE0ELi256ELi0EEENS7_40AvoidDeviceMaxThreadOccupancyConcretizerINS7_34FractionOffsetOccupancyConcretizerINS_8FractionImLm1ELm1EEELln1EEEEELb1EEENS_9Iterators16numeric_iteratorIllPlEEZN8rajaperf4apps6EDGE3D17runHipVariantImplILm256EEEvNSM_9VariantIDEEUllE0_lNS_4expt15ForallParamPackIJEEES6_SA_TnNSt9enable_ifIXaasr3std10is_base_ofINS5_10DirectBaseET4_EE5valuegtsrT5_10block_sizeLi0EEmE4typeELm256EEEvT1_T0_T2_T3_.num_vgpr, 256
	.set _ZN4RAJA6policy3hip4impl18forallp_hip_kernelINS1_8hip_execINS_17iteration_mapping6DirectENS_3hip11IndexGlobalILNS_9named_dimE0ELi256ELi0EEENS7_40AvoidDeviceMaxThreadOccupancyConcretizerINS7_34FractionOffsetOccupancyConcretizerINS_8FractionImLm1ELm1EEELln1EEEEELb1EEENS_9Iterators16numeric_iteratorIllPlEEZN8rajaperf4apps6EDGE3D17runHipVariantImplILm256EEEvNSM_9VariantIDEEUllE0_lNS_4expt15ForallParamPackIJEEES6_SA_TnNSt9enable_ifIXaasr3std10is_base_ofINS5_10DirectBaseET4_EE5valuegtsrT5_10block_sizeLi0EEmE4typeELm256EEEvT1_T0_T2_T3_.num_agpr, 0
	.set _ZN4RAJA6policy3hip4impl18forallp_hip_kernelINS1_8hip_execINS_17iteration_mapping6DirectENS_3hip11IndexGlobalILNS_9named_dimE0ELi256ELi0EEENS7_40AvoidDeviceMaxThreadOccupancyConcretizerINS7_34FractionOffsetOccupancyConcretizerINS_8FractionImLm1ELm1EEELln1EEEEELb1EEENS_9Iterators16numeric_iteratorIllPlEEZN8rajaperf4apps6EDGE3D17runHipVariantImplILm256EEEvNSM_9VariantIDEEUllE0_lNS_4expt15ForallParamPackIJEEES6_SA_TnNSt9enable_ifIXaasr3std10is_base_ofINS5_10DirectBaseET4_EE5valuegtsrT5_10block_sizeLi0EEmE4typeELm256EEEvT1_T0_T2_T3_.numbered_sgpr, 52
	.set _ZN4RAJA6policy3hip4impl18forallp_hip_kernelINS1_8hip_execINS_17iteration_mapping6DirectENS_3hip11IndexGlobalILNS_9named_dimE0ELi256ELi0EEENS7_40AvoidDeviceMaxThreadOccupancyConcretizerINS7_34FractionOffsetOccupancyConcretizerINS_8FractionImLm1ELm1EEELln1EEEEELb1EEENS_9Iterators16numeric_iteratorIllPlEEZN8rajaperf4apps6EDGE3D17runHipVariantImplILm256EEEvNSM_9VariantIDEEUllE0_lNS_4expt15ForallParamPackIJEEES6_SA_TnNSt9enable_ifIXaasr3std10is_base_ofINS5_10DirectBaseET4_EE5valuegtsrT5_10block_sizeLi0EEmE4typeELm256EEEvT1_T0_T2_T3_.num_named_barrier, 0
	.set _ZN4RAJA6policy3hip4impl18forallp_hip_kernelINS1_8hip_execINS_17iteration_mapping6DirectENS_3hip11IndexGlobalILNS_9named_dimE0ELi256ELi0EEENS7_40AvoidDeviceMaxThreadOccupancyConcretizerINS7_34FractionOffsetOccupancyConcretizerINS_8FractionImLm1ELm1EEELln1EEEEELb1EEENS_9Iterators16numeric_iteratorIllPlEEZN8rajaperf4apps6EDGE3D17runHipVariantImplILm256EEEvNSM_9VariantIDEEUllE0_lNS_4expt15ForallParamPackIJEEES6_SA_TnNSt9enable_ifIXaasr3std10is_base_ofINS5_10DirectBaseET4_EE5valuegtsrT5_10block_sizeLi0EEmE4typeELm256EEEvT1_T0_T2_T3_.private_seg_size, 1840
	.set _ZN4RAJA6policy3hip4impl18forallp_hip_kernelINS1_8hip_execINS_17iteration_mapping6DirectENS_3hip11IndexGlobalILNS_9named_dimE0ELi256ELi0EEENS7_40AvoidDeviceMaxThreadOccupancyConcretizerINS7_34FractionOffsetOccupancyConcretizerINS_8FractionImLm1ELm1EEELln1EEEEELb1EEENS_9Iterators16numeric_iteratorIllPlEEZN8rajaperf4apps6EDGE3D17runHipVariantImplILm256EEEvNSM_9VariantIDEEUllE0_lNS_4expt15ForallParamPackIJEEES6_SA_TnNSt9enable_ifIXaasr3std10is_base_ofINS5_10DirectBaseET4_EE5valuegtsrT5_10block_sizeLi0EEmE4typeELm256EEEvT1_T0_T2_T3_.uses_vcc, 1
	.set _ZN4RAJA6policy3hip4impl18forallp_hip_kernelINS1_8hip_execINS_17iteration_mapping6DirectENS_3hip11IndexGlobalILNS_9named_dimE0ELi256ELi0EEENS7_40AvoidDeviceMaxThreadOccupancyConcretizerINS7_34FractionOffsetOccupancyConcretizerINS_8FractionImLm1ELm1EEELln1EEEEELb1EEENS_9Iterators16numeric_iteratorIllPlEEZN8rajaperf4apps6EDGE3D17runHipVariantImplILm256EEEvNSM_9VariantIDEEUllE0_lNS_4expt15ForallParamPackIJEEES6_SA_TnNSt9enable_ifIXaasr3std10is_base_ofINS5_10DirectBaseET4_EE5valuegtsrT5_10block_sizeLi0EEmE4typeELm256EEEvT1_T0_T2_T3_.uses_flat_scratch, 0
	.set _ZN4RAJA6policy3hip4impl18forallp_hip_kernelINS1_8hip_execINS_17iteration_mapping6DirectENS_3hip11IndexGlobalILNS_9named_dimE0ELi256ELi0EEENS7_40AvoidDeviceMaxThreadOccupancyConcretizerINS7_34FractionOffsetOccupancyConcretizerINS_8FractionImLm1ELm1EEELln1EEEEELb1EEENS_9Iterators16numeric_iteratorIllPlEEZN8rajaperf4apps6EDGE3D17runHipVariantImplILm256EEEvNSM_9VariantIDEEUllE0_lNS_4expt15ForallParamPackIJEEES6_SA_TnNSt9enable_ifIXaasr3std10is_base_ofINS5_10DirectBaseET4_EE5valuegtsrT5_10block_sizeLi0EEmE4typeELm256EEEvT1_T0_T2_T3_.has_dyn_sized_stack, 0
	.set _ZN4RAJA6policy3hip4impl18forallp_hip_kernelINS1_8hip_execINS_17iteration_mapping6DirectENS_3hip11IndexGlobalILNS_9named_dimE0ELi256ELi0EEENS7_40AvoidDeviceMaxThreadOccupancyConcretizerINS7_34FractionOffsetOccupancyConcretizerINS_8FractionImLm1ELm1EEELln1EEEEELb1EEENS_9Iterators16numeric_iteratorIllPlEEZN8rajaperf4apps6EDGE3D17runHipVariantImplILm256EEEvNSM_9VariantIDEEUllE0_lNS_4expt15ForallParamPackIJEEES6_SA_TnNSt9enable_ifIXaasr3std10is_base_ofINS5_10DirectBaseET4_EE5valuegtsrT5_10block_sizeLi0EEmE4typeELm256EEEvT1_T0_T2_T3_.has_recursion, 0
	.set _ZN4RAJA6policy3hip4impl18forallp_hip_kernelINS1_8hip_execINS_17iteration_mapping6DirectENS_3hip11IndexGlobalILNS_9named_dimE0ELi256ELi0EEENS7_40AvoidDeviceMaxThreadOccupancyConcretizerINS7_34FractionOffsetOccupancyConcretizerINS_8FractionImLm1ELm1EEELln1EEEEELb1EEENS_9Iterators16numeric_iteratorIllPlEEZN8rajaperf4apps6EDGE3D17runHipVariantImplILm256EEEvNSM_9VariantIDEEUllE0_lNS_4expt15ForallParamPackIJEEES6_SA_TnNSt9enable_ifIXaasr3std10is_base_ofINS5_10DirectBaseET4_EE5valuegtsrT5_10block_sizeLi0EEmE4typeELm256EEEvT1_T0_T2_T3_.has_indirect_call, 0
	.section	.AMDGPU.csdata,"",@progbits
; Kernel info:
; codeLenInByte = 19432
; TotalNumSgprs: 54
; NumVgprs: 256
; ScratchSize: 1840
; MemoryBound: 0
; FloatMode: 240
; IeeeMode: 1
; LDSByteSize: 0 bytes/workgroup (compile time only)
; SGPRBlocks: 0
; VGPRBlocks: 31
; NumSGPRsForWavesPerEU: 54
; NumVGPRsForWavesPerEU: 256
; Occupancy: 4
; WaveLimiterHint : 1
; COMPUTE_PGM_RSRC2:SCRATCH_EN: 1
; COMPUTE_PGM_RSRC2:USER_SGPR: 6
; COMPUTE_PGM_RSRC2:TRAP_HANDLER: 0
; COMPUTE_PGM_RSRC2:TGID_X_EN: 1
; COMPUTE_PGM_RSRC2:TGID_Y_EN: 0
; COMPUTE_PGM_RSRC2:TGID_Z_EN: 0
; COMPUTE_PGM_RSRC2:TIDIG_COMP_CNT: 0
	.section	.AMDGPU.gpr_maximums,"",@progbits
	.set amdgpu.max_num_vgpr, 0
	.set amdgpu.max_num_agpr, 0
	.set amdgpu.max_num_sgpr, 0
	.section	.AMDGPU.csdata,"",@progbits
	.type	__hip_cuid_1badb3fbb1e4d087,@object ; @__hip_cuid_1badb3fbb1e4d087
	.section	.bss,"aw",@nobits
	.globl	__hip_cuid_1badb3fbb1e4d087
__hip_cuid_1badb3fbb1e4d087:
	.byte	0                               ; 0x0
	.size	__hip_cuid_1badb3fbb1e4d087, 1

	.ident	"AMD clang version 22.0.0git (https://github.com/RadeonOpenCompute/llvm-project roc-7.2.4 26084 f58b06dce1f9c15707c5f808fd002e18c2accf7e)"
	.section	".note.GNU-stack","",@progbits
	.addrsig
	.addrsig_sym __hip_cuid_1badb3fbb1e4d087
	.amdgpu_metadata
---
amdhsa.kernels:
  - .args:
      - .address_space:  global
        .offset:         0
        .size:           8
        .value_kind:     global_buffer
      - .address_space:  global
        .offset:         8
        .size:           8
        .value_kind:     global_buffer
      - .address_space:  global
        .offset:         16
        .size:           8
        .value_kind:     global_buffer
      - .address_space:  global
        .offset:         24
        .size:           8
        .value_kind:     global_buffer
      - .address_space:  global
        .offset:         32
        .size:           8
        .value_kind:     global_buffer
      - .address_space:  global
        .offset:         40
        .size:           8
        .value_kind:     global_buffer
      - .address_space:  global
        .offset:         48
        .size:           8
        .value_kind:     global_buffer
      - .address_space:  global
        .offset:         56
        .size:           8
        .value_kind:     global_buffer
      - .address_space:  global
        .offset:         64
        .size:           8
        .value_kind:     global_buffer
      - .address_space:  global
        .offset:         72
        .size:           8
        .value_kind:     global_buffer
      - .address_space:  global
        .offset:         80
        .size:           8
        .value_kind:     global_buffer
      - .address_space:  global
        .offset:         88
        .size:           8
        .value_kind:     global_buffer
      - .address_space:  global
        .offset:         96
        .size:           8
        .value_kind:     global_buffer
      - .address_space:  global
        .offset:         104
        .size:           8
        .value_kind:     global_buffer
      - .address_space:  global
        .offset:         112
        .size:           8
        .value_kind:     global_buffer
      - .address_space:  global
        .offset:         120
        .size:           8
        .value_kind:     global_buffer
      - .address_space:  global
        .offset:         128
        .size:           8
        .value_kind:     global_buffer
      - .address_space:  global
        .offset:         136
        .size:           8
        .value_kind:     global_buffer
      - .address_space:  global
        .offset:         144
        .size:           8
        .value_kind:     global_buffer
      - .address_space:  global
        .offset:         152
        .size:           8
        .value_kind:     global_buffer
      - .address_space:  global
        .offset:         160
        .size:           8
        .value_kind:     global_buffer
      - .address_space:  global
        .offset:         168
        .size:           8
        .value_kind:     global_buffer
      - .address_space:  global
        .offset:         176
        .size:           8
        .value_kind:     global_buffer
      - .address_space:  global
        .offset:         184
        .size:           8
        .value_kind:     global_buffer
      - .address_space:  global
        .offset:         192
        .size:           8
        .value_kind:     global_buffer
      - .offset:         200
        .size:           8
        .value_kind:     by_value
      - .offset:         208
        .size:           8
        .value_kind:     by_value
    .group_segment_fixed_size: 0
    .kernarg_segment_align: 8
    .kernarg_segment_size: 216
    .language:       OpenCL C
    .language_version:
      - 2
      - 0
    .max_flat_workgroup_size: 256
    .name:           _ZN8rajaperf4apps6edge3dILm256EEEvPdS2_S2_S2_S2_S2_S2_S2_S2_S2_S2_S2_S2_S2_S2_S2_S2_S2_S2_S2_S2_S2_S2_S2_S2_ll
    .private_segment_fixed_size: 1840
    .sgpr_count:     70
    .sgpr_spill_count: 0
    .symbol:         _ZN8rajaperf4apps6edge3dILm256EEEvPdS2_S2_S2_S2_S2_S2_S2_S2_S2_S2_S2_S2_S2_S2_S2_S2_S2_S2_S2_S2_S2_S2_S2_S2_ll.kd
    .uniform_work_group_size: 1
    .uses_dynamic_stack: false
    .vgpr_count:     256
    .vgpr_spill_count: 172
    .wavefront_size: 32
    .workgroup_processor_mode: 1
  - .args:
      - .offset:         0
        .size:           8
        .value_kind:     by_value
      - .offset:         8
        .size:           8
        .value_kind:     by_value
      - .offset:         16
        .size:           200
        .value_kind:     by_value
    .group_segment_fixed_size: 0
    .kernarg_segment_align: 8
    .kernarg_segment_size: 216
    .language:       OpenCL C
    .language_version:
      - 2
      - 0
    .max_flat_workgroup_size: 256
    .name:           _ZN8rajaperf17lambda_hip_forallILm256EZNS_4apps6EDGE3D17runHipVariantImplILm256EEEvNS_9VariantIDEEUllE_EEvllT0_
    .private_segment_fixed_size: 1840
    .sgpr_count:     54
    .sgpr_spill_count: 0
    .symbol:         _ZN8rajaperf17lambda_hip_forallILm256EZNS_4apps6EDGE3D17runHipVariantImplILm256EEEvNS_9VariantIDEEUllE_EEvllT0_.kd
    .uniform_work_group_size: 1
    .uses_dynamic_stack: false
    .vgpr_count:     256
    .vgpr_spill_count: 172
    .wavefront_size: 32
    .workgroup_processor_mode: 1
  - .args:
      - .offset:         0
        .size:           200
        .value_kind:     by_value
      - .offset:         200
        .size:           8
        .value_kind:     by_value
      - .offset:         208
        .size:           8
        .value_kind:     by_value
      - .offset:         216
        .size:           1
        .value_kind:     by_value
    .group_segment_fixed_size: 0
    .kernarg_segment_align: 8
    .kernarg_segment_size: 220
    .language:       OpenCL C
    .language_version:
      - 2
      - 0
    .max_flat_workgroup_size: 256
    .name:           _ZN4RAJA6policy3hip4impl18forallp_hip_kernelINS1_8hip_execINS_17iteration_mapping6DirectENS_3hip11IndexGlobalILNS_9named_dimE0ELi256ELi0EEENS7_40AvoidDeviceMaxThreadOccupancyConcretizerINS7_34FractionOffsetOccupancyConcretizerINS_8FractionImLm1ELm1EEELln1EEEEELb1EEENS_9Iterators16numeric_iteratorIllPlEEZN8rajaperf4apps6EDGE3D17runHipVariantImplILm256EEEvNSM_9VariantIDEEUllE0_lNS_4expt15ForallParamPackIJEEES6_SA_TnNSt9enable_ifIXaasr3std10is_base_ofINS5_10DirectBaseET4_EE5valuegtsrT5_10block_sizeLi0EEmE4typeELm256EEEvT1_T0_T2_T3_
    .private_segment_fixed_size: 1840
    .sgpr_count:     54
    .sgpr_spill_count: 0
    .symbol:         _ZN4RAJA6policy3hip4impl18forallp_hip_kernelINS1_8hip_execINS_17iteration_mapping6DirectENS_3hip11IndexGlobalILNS_9named_dimE0ELi256ELi0EEENS7_40AvoidDeviceMaxThreadOccupancyConcretizerINS7_34FractionOffsetOccupancyConcretizerINS_8FractionImLm1ELm1EEELln1EEEEELb1EEENS_9Iterators16numeric_iteratorIllPlEEZN8rajaperf4apps6EDGE3D17runHipVariantImplILm256EEEvNSM_9VariantIDEEUllE0_lNS_4expt15ForallParamPackIJEEES6_SA_TnNSt9enable_ifIXaasr3std10is_base_ofINS5_10DirectBaseET4_EE5valuegtsrT5_10block_sizeLi0EEmE4typeELm256EEEvT1_T0_T2_T3_.kd
    .uniform_work_group_size: 1
    .uses_dynamic_stack: false
    .vgpr_count:     256
    .vgpr_spill_count: 172
    .wavefront_size: 32
    .workgroup_processor_mode: 1
amdhsa.target:   amdgcn-amd-amdhsa--gfx1030
amdhsa.version:
  - 1
  - 2
...

	.end_amdgpu_metadata
